;; amdgpu-corpus repo=ROCm/aiter kind=harvested arch=n/a opt=n/a

/root/src/amdgpu-assembly/repos/ROCm__aiter/hsa/gfx950/f4gemm/f4gemm_bf16_per1x32Fp4_BpreShuffle_32x640.co:	file format elf64-amdgpu

Disassembly of section .text:

0000000000002c00 <_ZN5aiter41f4gemm_bf16_per1x32Fp4_BpreShuffle_32x640E>:
	s_and_b32 s1, s1, 0xffff                                   // 000000002C00: 8601FF01 0000FFFF
	s_load_dwordx2 s[4:5], s[0:1], 0x0                         // 000000002C08: C0060100 00000000
	s_load_dwordx2 s[8:9], s[0:1], 0x10                        // 000000002C10: C0060200 00000010
	s_load_dwordx2 s[12:13], s[0:1], 0x20                      // 000000002C18: C0060300 00000020
	s_load_dwordx2 s[16:17], s[0:1], 0x30                      // 000000002C20: C0060400 00000030
	s_load_dword s41, s[0:1], 0x40                             // 000000002C28: C0020A40 00000040
	s_load_dword s42, s[0:1], 0x50                             // 000000002C30: C0020A80 00000050
	s_load_dword s36, s[0:1], 0x80                             // 000000002C38: C0020900 00000080
	s_load_dword s37, s[0:1], 0xa0                             // 000000002C40: C0020940 000000A0
	s_load_dword s38, s[0:1], 0xc0                             // 000000002C48: C0020980 000000C0
	s_load_dword s43, s[0:1], 0xe0                             // 000000002C50: C0020AC0 000000E0
	s_load_dword s44, s[0:1], 0xf0                             // 000000002C58: C0020B00 000000F0
	s_load_dword s45, s[0:1], 0x100                            // 000000002C60: C0020B40 00000100
	s_load_dwordx2 s[20:21], s[0:1], 0x110                     // 000000002C68: C0060500 00000110
	s_load_dwordx2 s[24:25], s[0:1], 0x120                     // 000000002C70: C0060600 00000120
	s_load_dword s39, s[0:1], 0x130                            // 000000002C78: C00209C0 00000130
	s_load_dword s40, s[0:1], 0x150                            // 000000002C80: C0020A00 00000150
	v_lshrrev_b32_e32 v1, 10, v0                               // 000000002C88: 2002008A
	v_lshrrev_b32_e32 v2, 10, v1                               // 000000002C8C: 2004028A
	v_and_b32_e32 v2, 0x3ff, v2                                // 000000002C90: 260404FF 000003FF
	v_and_b32_e32 v1, 0x3ff, v1                                // 000000002C98: 260202FF 000003FF
	v_and_b32_e32 v0, 0x3ff, v0                                // 000000002CA0: 260000FF 000003FF
	v_lshrrev_b32_e32 v3, 6, v0                                // 000000002CA8: 20060086
	v_and_b32_e32 v0, 63, v0                                   // 000000002CAC: 260000BF
	s_mov_b32 s47, s2                                          // 000000002CB0: BEAF0002
	s_mov_b32 s48, s3                                          // 000000002CB4: BEB00003
	v_readfirstlane_b32 s46, v3                                // 000000002CB8: 7E5C0503
	s_waitcnt lgkmcnt(0)                                       // 000000002CBC: BF8CC07F
	s_add_u32 s51, s44, 0x27f                                  // 000000002CC0: 8033FF2C 0000027F
	s_mov_b32 s63, 0x280                                       // 000000002CC8: BEBF00FF 00000280
	v_cvt_f32_u32_e32 v4, s63                                  // 000000002CD0: 7E080C3F
	s_sub_i32 s50, 0, s63                                      // 000000002CD4: 81B23F80
	v_rcp_iflag_f32_e32 v4, v4                                 // 000000002CD8: 7E084704
	s_nop 0                                                    // 000000002CDC: BF800000
	v_mul_f32_e32 v4, 0x4f7ffffe, v4                           // 000000002CE0: 0A0808FF 4F7FFFFE
	v_cvt_u32_f32_e32 v4, v4                                   // 000000002CE8: 7E080F04
	v_mul_lo_u32 v5, s50, v4                                   // 000000002CEC: D2850005 00020832
	v_mul_hi_u32 v5, v4, v5                                    // 000000002CF4: D2860005 00020B04
	v_add_u32_e32 v4, v4, v5                                   // 000000002CFC: 68080B04
	v_mul_hi_u32 v4, s51, v4                                   // 000000002D00: D2860004 00020833
	v_mul_lo_u32 v5, v4, s63                                   // 000000002D08: D2850005 00007F04
	v_sub_u32_e32 v7, s51, v5                                  // 000000002D10: 6A0E0A33
	v_add_u32_e32 v6, 1, v4                                    // 000000002D14: 680C0881
	v_cmp_le_u32_e32 vcc, s63, v7                              // 000000002D18: 7D960E3F
	v_subrev_u32_e32 v5, s63, v7                               // 000000002D1C: 6C0A0E3F
	s_nop 0                                                    // 000000002D20: BF800000
	v_cndmask_b32_e32 v4, v4, v6, vcc                          // 000000002D24: 00080D04
	v_cndmask_b32_e32 v7, v7, v5, vcc                          // 000000002D28: 000E0B07
	v_add_u32_e32 v5, 1, v4                                    // 000000002D2C: 680A0881
	v_cmp_le_u32_e32 vcc, s63, v7                              // 000000002D30: 7D960E3F
	s_nop 1                                                    // 000000002D34: BF800001
	v_cndmask_b32_e32 v7, v4, v5, vcc                          // 000000002D38: 000E0B04
	s_nop 3                                                    // 000000002D3C: BF800003
	v_readfirstlane_b32 s50, v7                                // 000000002D40: 7E640507
	s_nop 3                                                    // 000000002D44: BF800003
	s_mul_i32 s49, s50, s48                                    // 000000002D48: 92313032
	s_add_i32 s49, s49, s47                                    // 000000002D4C: 81312F31
	s_add_u32 s51, s43, 31                                     // 000000002D50: 80339F2B
	s_lshr_b32 s62, s51, 5                                     // 000000002D54: 8F3E8533
	s_lshl_b32 s62, s62, 5                                     // 000000002D58: 8E3E853E
	s_mov_b32 s47, 0                                           // 000000002D5C: BEAF0080

0000000000002d60 <label_0058>:
	s_cmp_lt_i32 s49, s62                                      // 000000002D60: BF043E31
	s_cbranch_scc1 label_005D                                  // 000000002D64: BF850003
	s_sub_i32 s49, s49, s62                                    // 000000002D68: 81B13E31
	s_add_i32 s47, s47, 32                                     // 000000002D6C: 812FA02F
	s_branch label_0058                                        // 000000002D70: BF82FFFB

0000000000002d74 <label_005D>:
	s_sub_i32 s50, s50, s47                                    // 000000002D74: 81B22F32
	s_cmp_lt_i32 s50, 32                                       // 000000002D78: BF04A032
	s_cbranch_scc1 label_0063                                  // 000000002D7C: BF850003
	s_lshr_b32 s48, s49, 5                                     // 000000002D80: 8F308531
	s_and_b32 s62, s49, 31                                     // 000000002D84: 863E9F31
	s_branch label_0083                                        // 000000002D88: BF820020

0000000000002d8c <label_0063>:
	v_cvt_f32_u32_e32 v4, s50                                  // 000000002D8C: 7E080C32
	s_sub_i32 s48, 0, s50                                      // 000000002D90: 81B03280
	v_rcp_iflag_f32_e32 v4, v4                                 // 000000002D94: 7E084704
	s_nop 0                                                    // 000000002D98: BF800000
	v_mul_f32_e32 v4, 0x4f7ffffe, v4                           // 000000002D9C: 0A0808FF 4F7FFFFE
	v_cvt_u32_f32_e32 v4, v4                                   // 000000002DA4: 7E080F04
	v_mul_lo_u32 v5, s48, v4                                   // 000000002DA8: D2850005 00020830
	v_mul_hi_u32 v5, v4, v5                                    // 000000002DB0: D2860005 00020B04
	v_add_u32_e32 v4, v4, v5                                   // 000000002DB8: 68080B04
	v_mul_hi_u32 v4, s49, v4                                   // 000000002DBC: D2860004 00020831
	v_mul_lo_u32 v5, v4, s50                                   // 000000002DC4: D2850005 00006504
	v_sub_u32_e32 v7, s49, v5                                  // 000000002DCC: 6A0E0A31
	v_add_u32_e32 v6, 1, v4                                    // 000000002DD0: 680C0881
	v_cmp_le_u32_e32 vcc, s50, v7                              // 000000002DD4: 7D960E32
	v_subrev_u32_e32 v5, s50, v7                               // 000000002DD8: 6C0A0E32
	s_nop 0                                                    // 000000002DDC: BF800000
	v_cndmask_b32_e32 v4, v4, v6, vcc                          // 000000002DE0: 00080D04
	v_cndmask_b32_e32 v7, v7, v5, vcc                          // 000000002DE4: 000E0B07
	v_add_u32_e32 v5, 1, v4                                    // 000000002DE8: 680A0881
	v_cmp_le_u32_e32 vcc, s50, v7                              // 000000002DEC: 7D960E32
	s_nop 1                                                    // 000000002DF0: BF800001
	v_cndmask_b32_e32 v7, v4, v5, vcc                          // 000000002DF4: 000E0B04
	s_nop 3                                                    // 000000002DF8: BF800003
	v_readfirstlane_b32 s48, v7                                // 000000002DFC: 7E600507
	s_nop 3                                                    // 000000002E00: BF800003
	s_mul_i32 s62, s50, s48                                    // 000000002E04: 923E3032
	s_sub_i32 s62, s49, s62                                    // 000000002E08: 81BE3E31

0000000000002e0c <label_0083>:
	s_add_i32 s47, s62, s47                                    // 000000002E0C: 812F2F3E
	s_lshr_b32 s37, s37, 1                                     // 000000002E10: 8F258125
	s_mul_i32 s62, s48, 32                                     // 000000002E14: 923EA030
	s_mul_hi_u32 s63, s37, s62                                 // 000000002E18: 963F3E25
	s_add_u32 s13, s13, s63                                    // 000000002E1C: 800D3F0D
	s_mul_i32 s63, s37, s62                                    // 000000002E20: 923F3E25
	s_add_u32 s12, s12, s63                                    // 000000002E24: 800C3F0C
	s_addc_u32 s13, s13, 0                                     // 000000002E28: 820D800D
	s_sub_i32 s63, s43, s62                                    // 000000002E2C: 81BF3E2B
	s_cmp_lt_u32 s63, 32                                       // 000000002E30: BF0AA03F
	s_cselect_b32 s62, s63, 32                                 // 000000002E34: 853EA03F
	s_mul_i32 s14, s37, s62                                    // 000000002E38: 920E3E25
	s_mov_b32 s15, 0x20000                                     // 000000002E3C: BE8F00FF 00020000
	v_lshrrev_b32_e32 v4, 3, v0                                // 000000002E44: 20080083
	v_lshrrev_b32_e32 v5, 2, v4                                // 000000002E48: 200A0882
	v_lshlrev_b32_e32 v5, 4, v5                                // 000000002E4C: 240A0A84
	v_and_b32_e32 v4, 3, v4                                    // 000000002E50: 26080883
	v_lshrrev_b32_e32 v6, 1, v4                                // 000000002E54: 200C0881
	v_lshlrev_b32_e32 v6, 2, v6                                // 000000002E58: 240C0C82
	v_add_u32_e32 v5, v5, v6                                   // 000000002E5C: 680A0D05
	v_and_b32_e32 v4, 1, v4                                    // 000000002E60: 26080881
	v_add_u32_e32 v5, v5, v4                                   // 000000002E64: 680A0905
	v_mul_lo_u32 v161, s37, v5                                 // 000000002E68: D28500A1 00020A25
	v_and_b32_e32 v4, 7, v0                                    // 000000002E70: 26080087
	v_lshlrev_b32_e32 v4, 4, v4                                // 000000002E74: 24080884
	v_add_u32_e32 v161, v4, v161                               // 000000002E78: 69434304
	s_lshr_b32 s62, s46, 1                                     // 000000002E7C: 8F3E812E
	s_mul_i32 s62, s62, 8                                      // 000000002E80: 923E883E
	s_and_b32 s63, s46, 1                                      // 000000002E84: 863F812E
	s_mul_i32 s63, s63, 2                                      // 000000002E88: 923F823F
	s_add_u32 s62, s62, s63                                    // 000000002E8C: 803E3F3E
	s_mul_i32 s62, s37, s62                                    // 000000002E90: 923E3E25
	v_add_u32_e32 v161, s62, v161                              // 000000002E94: 6943423E
	s_mul_i32 s64, 0x420, s46                                  // 000000002E98: 92402EFF 00000420
	s_add_u32 s64, 0x1000, s64                                 // 000000002EA0: 804040FF 00001000
	v_and_b32_e32 v4, 15, v0                                   // 000000002EA8: 2608008F
	v_lshrrev_b32_e32 v5, 3, v4                                // 000000002EAC: 200A0883
	v_mul_i32_i24_e32 v5, 2, v5                                // 000000002EB0: 0C0A0A82
	v_and_b32_e32 v4, 3, v0                                    // 000000002EB4: 26080083
	v_lshrrev_b32_e32 v6, 1, v4                                // 000000002EB8: 200C0881
	v_add_u32_e32 v4, v5, v6                                   // 000000002EBC: 68080D05
	v_mul_i32_i24_e32 v162, 0x420, v4                          // 000000002EC0: 0D4408FF 00000420
	v_and_b32_e32 v4, 7, v0                                    // 000000002EC8: 26080087
	v_lshrrev_b32_e32 v5, 2, v4                                // 000000002ECC: 200A0882
	v_mul_i32_i24_e32 v5, 0x100, v5                            // 000000002ED0: 0C0A0AFF 00000100
	v_add_u32_e32 v162, v5, v162                               // 000000002ED8: 69454505
	v_and_b32_e32 v4, 1, v0                                    // 000000002EDC: 26080081
	v_mul_i32_i24_e32 v6, 0x80, v4                             // 000000002EE0: 0C0C08FF 00000080
	v_add_u32_e32 v162, v6, v162                               // 000000002EE8: 69454506
	v_lshrrev_b32_e32 v4, 4, v0                                // 000000002EEC: 20080084
	v_mul_i32_i24_e32 v4, 16, v4                               // 000000002EF0: 0C080890
	v_add_u32_e32 v162, v4, v162                               // 000000002EF4: 69454504
	v_add_u32_e32 v162, 0x1000, v162                           // 000000002EF8: 694544FF 00001000
	v_add_u32_e32 v163, 0x1080, v162                           // 000000002F00: 694744FF 00001080
	v_add_u32_e32 v164, 0x1080, v163                           // 000000002F08: 694946FF 00001080
	v_add_u32_e32 v165, 0x1080, v164                           // 000000002F10: 694B48FF 00001080
	s_mul_i32 s62, s48, 32                                     // 000000002F18: 923EA030
	s_mul_hi_u32 s63, s39, s62                                 // 000000002F1C: 963F3E27
	s_add_u32 s21, s21, s63                                    // 000000002F20: 80153F15
	s_mul_i32 s63, s39, s62                                    // 000000002F24: 923F3E27
	s_add_u32 s20, s20, s63                                    // 000000002F28: 80143F14
	s_addc_u32 s21, s21, 0                                     // 000000002F2C: 82158015
	s_add_u32 s63, s43, 31                                     // 000000002F30: 803F9F2B
	s_lshr_b32 s63, s63, 5                                     // 000000002F34: 8F3F853F
	s_lshl_b32 s63, s63, 5                                     // 000000002F38: 8E3F853F
	s_sub_i32 s63, s63, s62                                    // 000000002F3C: 81BF3E3F
	s_cmp_lt_u32 s63, 32                                       // 000000002F40: BF0AA03F
	s_cselect_b32 s62, s63, 32                                 // 000000002F44: 853EA03F
	s_mul_i32 s22, s39, s62                                    // 000000002F48: 92163E27
	s_mov_b32 s23, 0x20000                                     // 000000002F4C: BE9700FF 00020000
	v_lshlrev_b32_e32 v166, 2, v0                              // 000000002F54: 254C0082
	s_mul_i32 s63, s46, 32                                     // 000000002F58: 923FA02E
	s_mul_i32 s63, s63, s39                                    // 000000002F5C: 923F273F
	v_add_u32_e32 v166, s63, v166                              // 000000002F60: 694D4C3F
	s_mul_i32 s65, s46, 0x100                                  // 000000002F64: 9241FF2E 00000100
	s_add_i32 s65, s65, 0                                      // 000000002F6C: 81418041
	v_lshlrev_b32_e32 v167, 2, v0                              // 000000002F70: 254E0082
	v_add_u32_e32 v167, 0, v167                                // 000000002F74: 694F4E80
	s_lshr_b32 s38, s38, 1                                     // 000000002F78: 8F268126
	s_mul_i32 s62, s47, 0x280                                  // 000000002F7C: 923EFF2F 00000280
	s_mul_hi_u32 s63, s38, s62                                 // 000000002F84: 963F3E26
	s_add_u32 s17, s17, s63                                    // 000000002F88: 80113F11
	s_mul_i32 s63, s38, s62                                    // 000000002F8C: 923F3E26
	s_add_u32 s16, s16, s63                                    // 000000002F90: 80103F10
	s_addc_u32 s17, s17, 0                                     // 000000002F94: 82118011
	s_sub_i32 s63, s44, s62                                    // 000000002F98: 81BF3E2C
	s_cmp_lt_u32 s63, 0x280                                    // 000000002F9C: BF0AFF3F 00000280
	s_cselect_b32 s62, s63, 0x280                              // 000000002FA4: 853EFF3F 00000280
	s_mul_i32 s18, s38, s62                                    // 000000002FAC: 92123E26
	s_mov_b32 s19, 0x20000                                     // 000000002FB0: BE9300FF 00020000
	v_lshlrev_b32_e32 v168, 4, v0                              // 000000002FB8: 25500084
	s_mul_i32 s63, s46, 0xa0                                   // 000000002FBC: 923FFF2E 000000A0
	s_mul_i32 s62, s63, s38                                    // 000000002FC4: 923E263F
	v_add_u32_e32 v168, s62, v168                              // 000000002FC8: 6951503E
	s_mul_i32 s62, 16, s38                                     // 000000002FCC: 923E2690
	v_add_u32_e32 v169, s62, v168                              // 000000002FD0: 6953503E
	v_add_u32_e32 v170, s62, v169                              // 000000002FD4: 6955523E
	v_add_u32_e32 v171, s62, v170                              // 000000002FD8: 6957543E
	v_add_u32_e32 v172, s62, v171                              // 000000002FDC: 6959563E
	v_add_u32_e32 v173, s62, v172                              // 000000002FE0: 695B583E
	v_add_u32_e32 v174, s62, v173                              // 000000002FE4: 695D5A3E
	v_add_u32_e32 v175, s62, v174                              // 000000002FE8: 695F5C3E
	v_add_u32_e32 v176, s62, v175                              // 000000002FEC: 69615E3E
	v_add_u32_e32 v177, s62, v176                              // 000000002FF0: 6963603E
	s_mul_i32 s62, s47, 0x280                                  // 000000002FF4: 923EFF2F 00000280
	s_mul_hi_u32 s63, s40, s62                                 // 000000002FFC: 963F3E28
	s_add_u32 s25, s25, s63                                    // 000000003000: 80193F19
	s_mul_i32 s63, s40, s62                                    // 000000003004: 923F3E28
	s_add_u32 s24, s24, s63                                    // 000000003008: 80183F18
	s_addc_u32 s25, s25, 0                                     // 00000000300C: 82198019
	s_sub_i32 s63, s44, s62                                    // 000000003010: 81BF3E2C
	s_cmp_lt_u32 s63, 0x280                                    // 000000003014: BF0AFF3F 00000280
	s_cselect_b32 s62, s63, 0x280                              // 00000000301C: 853EFF3F 00000280
	s_mul_i32 s26, s40, s62                                    // 000000003024: 921A3E28
	s_mov_b32 s27, 0x20000                                     // 000000003028: BE9B00FF 00020000
	v_lshlrev_b32_e32 v178, 2, v0                              // 000000003030: 25640082
	s_mul_i32 s63, s46, 0xa0                                   // 000000003034: 923FFF2E 000000A0
	s_mul_i32 s63, s63, s40                                    // 00000000303C: 923F283F
	v_add_u32_e32 v178, s63, v178                              // 000000003040: 6965643F
	s_mul_i32 s62, 32, s40                                     // 000000003044: 923E28A0
	v_add_u32_e32 v179, s62, v178                              // 000000003048: 6967643E
	v_add_u32_e32 v180, s62, v179                              // 00000000304C: 6969663E
	v_add_u32_e32 v181, s62, v180                              // 000000003050: 696B683E
	v_add_u32_e32 v182, s62, v181                              // 000000003054: 696D6A3E
	s_mov_b32 s66, 0x80                                        // 000000003058: BEC200FF 00000080
	s_mov_b32 s67, 0x800                                       // 000000003060: BEC300FF 00000800
	s_mov_b32 s68, 0x100                                       // 000000003068: BEC400FF 00000100
	s_mov_b32 s69, 0x100                                       // 000000003070: BEC500FF 00000100
	s_mov_b32 s60, 0                                           // 000000003078: BEBC0080
	s_mov_b32 s61, s45                                         // 00000000307C: BEBD002D
	s_add_u32 m0, 0, s65                                       // 000000003080: 807C4180
	buffer_load_dword v166, s[20:23], 0 offen lds              // 000000003084: E0511000 800500A6
	v_accvgpr_write_b32 a0, 0                                  // 00000000308C: D3D94000 18000080
	v_accvgpr_write_b32 a1, 0                                  // 000000003094: D3D94001 18000080
	v_accvgpr_write_b32 a2, 0                                  // 00000000309C: D3D94002 18000080
	v_accvgpr_write_b32 a3, 0                                  // 0000000030A4: D3D94003 18000080
	v_accvgpr_write_b32 a4, 0                                  // 0000000030AC: D3D94004 18000080
	v_accvgpr_write_b32 a5, 0                                  // 0000000030B4: D3D94005 18000080
	s_add_u32 m0, 0, s64                                       // 0000000030BC: 807C4080
	buffer_load_dwordx4 v161, s[12:15], 0 offen lds            // 0000000030C0: E05D1000 800300A1
	v_accvgpr_write_b32 a6, 0                                  // 0000000030C8: D3D94006 18000080
	v_accvgpr_write_b32 a7, 0                                  // 0000000030D0: D3D94007 18000080
	v_accvgpr_write_b32 a8, 0                                  // 0000000030D8: D3D94008 18000080
	v_accvgpr_write_b32 a9, 0                                  // 0000000030E0: D3D94009 18000080
	v_accvgpr_write_b32 a10, 0                                 // 0000000030E8: D3D9400A 18000080
	v_accvgpr_write_b32 a11, 0                                 // 0000000030F0: D3D9400B 18000080
	s_add_u32 s62, 0x100, s60                                  // 0000000030F8: 803E3CFF 00000100
	s_cmp_lt_u32 s62, s61                                      // 000000003100: BF0A3D3E
	s_cselect_b32 s66, s66, 0                                  // 000000003104: 85428042
	s_cselect_b32 s68, s68, 0                                  // 000000003108: 85448044
	s_add_u32 s12, s12, s66                                    // 00000000310C: 800C420C
	s_addc_u32 s13, 0, s13                                     // 000000003110: 820D0D80
	s_sub_u32 s14, s14, s66                                    // 000000003114: 808E420E
	s_add_u32 s20, s20, s68                                    // 000000003118: 80144414
	s_addc_u32 s21, 0, s21                                     // 00000000311C: 82151580
	s_sub_u32 s22, s22, s68                                    // 000000003120: 80964416
	s_add_u32 m0, 0x400, s65                                   // 000000003124: 807C41FF 00000400
	buffer_load_dword v166, s[20:23], 0 offen lds              // 00000000312C: E0511000 800500A6
	v_accvgpr_write_b32 a12, 0                                 // 000000003134: D3D9400C 18000080
	v_accvgpr_write_b32 a13, 0                                 // 00000000313C: D3D9400D 18000080
	v_accvgpr_write_b32 a14, 0                                 // 000000003144: D3D9400E 18000080
	v_accvgpr_write_b32 a15, 0                                 // 00000000314C: D3D9400F 18000080
	v_accvgpr_write_b32 a16, 0                                 // 000000003154: D3D94010 18000080
	v_accvgpr_write_b32 a17, 0                                 // 00000000315C: D3D94011 18000080
	s_add_u32 m0, 0x1080, s64                                  // 000000003164: 807C40FF 00001080
	buffer_load_dwordx4 v161, s[12:15], 0 offen lds            // 00000000316C: E05D1000 800300A1
	v_accvgpr_write_b32 a18, 0                                 // 000000003174: D3D94012 18000080
	v_accvgpr_write_b32 a19, 0                                 // 00000000317C: D3D94013 18000080
	v_accvgpr_write_b32 a20, 0                                 // 000000003184: D3D94014 18000080
	v_accvgpr_write_b32 a21, 0                                 // 00000000318C: D3D94015 18000080
	v_accvgpr_write_b32 a22, 0                                 // 000000003194: D3D94016 18000080
	v_accvgpr_write_b32 a23, 0                                 // 00000000319C: D3D94017 18000080
	buffer_load_dwordx4 v[72:75], v168, s[16:19], 0 offen      // 0000000031A4: E05C1000 800448A8
	v_accvgpr_write_b32 a24, 0                                 // 0000000031AC: D3D94018 18000080
	v_accvgpr_write_b32 a25, 0                                 // 0000000031B4: D3D94019 18000080
	v_accvgpr_write_b32 a26, 0                                 // 0000000031BC: D3D9401A 18000080
	v_accvgpr_write_b32 a27, 0                                 // 0000000031C4: D3D9401B 18000080
	v_accvgpr_write_b32 a28, 0                                 // 0000000031CC: D3D9401C 18000080
	v_accvgpr_write_b32 a29, 0                                 // 0000000031D4: D3D9401D 18000080
	buffer_load_dwordx4 v[76:79], v169, s[16:19], 0 offen      // 0000000031DC: E05C1000 80044CA9
	v_accvgpr_write_b32 a30, 0                                 // 0000000031E4: D3D9401E 18000080
	v_accvgpr_write_b32 a31, 0                                 // 0000000031EC: D3D9401F 18000080
	v_accvgpr_write_b32 a32, 0                                 // 0000000031F4: D3D94020 18000080
	v_accvgpr_write_b32 a33, 0                                 // 0000000031FC: D3D94021 18000080
	v_accvgpr_write_b32 a34, 0                                 // 000000003204: D3D94022 18000080
	v_accvgpr_write_b32 a35, 0                                 // 00000000320C: D3D94023 18000080
	buffer_load_dwordx4 v[80:83], v168, s[16:19], 0 offen offset:1024// 000000003214: E05C1400 800450A8
	v_accvgpr_write_b32 a36, 0                                 // 00000000321C: D3D94024 18000080
	v_accvgpr_write_b32 a37, 0                                 // 000000003224: D3D94025 18000080
	v_accvgpr_write_b32 a38, 0                                 // 00000000322C: D3D94026 18000080
	v_accvgpr_write_b32 a39, 0                                 // 000000003234: D3D94027 18000080
	v_accvgpr_write_b32 a40, 0                                 // 00000000323C: D3D94028 18000080
	v_accvgpr_write_b32 a41, 0                                 // 000000003244: D3D94029 18000080
	buffer_load_dwordx4 v[84:87], v169, s[16:19], 0 offen offset:1024// 00000000324C: E05C1400 800454A9
	v_accvgpr_write_b32 a42, 0                                 // 000000003254: D3D9402A 18000080
	v_accvgpr_write_b32 a43, 0                                 // 00000000325C: D3D9402B 18000080
	v_accvgpr_write_b32 a44, 0                                 // 000000003264: D3D9402C 18000080
	v_accvgpr_write_b32 a45, 0                                 // 00000000326C: D3D9402D 18000080
	v_accvgpr_write_b32 a46, 0                                 // 000000003274: D3D9402E 18000080
	v_accvgpr_write_b32 a47, 0                                 // 00000000327C: D3D9402F 18000080
	buffer_load_dword v156, v178, s[24:27], 0 offen            // 000000003284: E0501000 80069CB2
	v_accvgpr_write_b32 a48, 0                                 // 00000000328C: D3D94030 18000080
	v_accvgpr_write_b32 a49, 0                                 // 000000003294: D3D94031 18000080
	v_accvgpr_write_b32 a50, 0                                 // 00000000329C: D3D94032 18000080
	v_accvgpr_write_b32 a51, 0                                 // 0000000032A4: D3D94033 18000080
	v_accvgpr_write_b32 a52, 0                                 // 0000000032AC: D3D94034 18000080
	v_accvgpr_write_b32 a53, 0                                 // 0000000032B4: D3D94035 18000080
	s_add_u32 s62, 0x200, s60                                  // 0000000032BC: 803E3CFF 00000200
	s_cmp_lt_u32 s62, s61                                      // 0000000032C4: BF0A3D3E
	s_cselect_b32 s66, s66, 0                                  // 0000000032C8: 85428042
	s_cselect_b32 s68, s68, 0                                  // 0000000032CC: 85448044
	s_add_u32 s12, s12, s66                                    // 0000000032D0: 800C420C
	s_addc_u32 s13, 0, s13                                     // 0000000032D4: 820D0D80
	s_sub_u32 s14, s14, s66                                    // 0000000032D8: 808E420E
	s_add_u32 s20, s20, s68                                    // 0000000032DC: 80144414
	s_addc_u32 s21, 0, s21                                     // 0000000032E0: 82151580
	s_sub_u32 s22, s22, s68                                    // 0000000032E4: 80964416
	buffer_load_dwordx4 v[88:91], v170, s[16:19], 0 offen      // 0000000032E8: E05C1000 800458AA
	v_accvgpr_write_b32 a54, 0                                 // 0000000032F0: D3D94036 18000080
	v_accvgpr_write_b32 a55, 0                                 // 0000000032F8: D3D94037 18000080
	v_accvgpr_write_b32 a56, 0                                 // 000000003300: D3D94038 18000080
	v_accvgpr_write_b32 a57, 0                                 // 000000003308: D3D94039 18000080
	v_accvgpr_write_b32 a58, 0                                 // 000000003310: D3D9403A 18000080
	v_accvgpr_write_b32 a59, 0                                 // 000000003318: D3D9403B 18000080
	buffer_load_dwordx4 v[92:95], v171, s[16:19], 0 offen      // 000000003320: E05C1000 80045CAB
	v_accvgpr_write_b32 a60, 0                                 // 000000003328: D3D9403C 18000080
	v_accvgpr_write_b32 a61, 0                                 // 000000003330: D3D9403D 18000080
	v_accvgpr_write_b32 a62, 0                                 // 000000003338: D3D9403E 18000080
	v_accvgpr_write_b32 a63, 0                                 // 000000003340: D3D9403F 18000080
	v_accvgpr_write_b32 a64, 0                                 // 000000003348: D3D94040 18000080
	v_accvgpr_write_b32 a65, 0                                 // 000000003350: D3D94041 18000080
	buffer_load_dwordx4 v[96:99], v170, s[16:19], 0 offen offset:1024// 000000003358: E05C1400 800460AA
	v_accvgpr_write_b32 a66, 0                                 // 000000003360: D3D94042 18000080
	v_accvgpr_write_b32 a67, 0                                 // 000000003368: D3D94043 18000080
	v_accvgpr_write_b32 a68, 0                                 // 000000003370: D3D94044 18000080
	v_accvgpr_write_b32 a69, 0                                 // 000000003378: D3D94045 18000080
	v_accvgpr_write_b32 a70, 0                                 // 000000003380: D3D94046 18000080
	v_accvgpr_write_b32 a71, 0                                 // 000000003388: D3D94047 18000080
	buffer_load_dwordx4 v[100:103], v171, s[16:19], 0 offen offset:1024// 000000003390: E05C1400 800464AB
	v_accvgpr_write_b32 a72, 0                                 // 000000003398: D3D94048 18000080
	v_accvgpr_write_b32 a73, 0                                 // 0000000033A0: D3D94049 18000080
	v_accvgpr_write_b32 a74, 0                                 // 0000000033A8: D3D9404A 18000080
	v_accvgpr_write_b32 a75, 0                                 // 0000000033B0: D3D9404B 18000080
	v_accvgpr_write_b32 a76, 0                                 // 0000000033B8: D3D9404C 18000080
	v_accvgpr_write_b32 a77, 0                                 // 0000000033C0: D3D9404D 18000080
	buffer_load_dword v157, v179, s[24:27], 0 offen            // 0000000033C8: E0501000 80069DB3
	v_accvgpr_write_b32 a78, 0                                 // 0000000033D0: D3D9404E 18000080
	v_accvgpr_write_b32 a79, 0                                 // 0000000033D8: D3D9404F 18000080
	buffer_load_dwordx4 v[104:107], v172, s[16:19], 0 offen    // 0000000033E0: E05C1000 800468AC
	buffer_load_dwordx4 v[108:111], v173, s[16:19], 0 offen    // 0000000033E8: E05C1000 80046CAD
	buffer_load_dwordx4 v[112:115], v172, s[16:19], 0 offen offset:1024// 0000000033F0: E05C1400 800470AC
	buffer_load_dwordx4 v[116:119], v173, s[16:19], 0 offen offset:1024// 0000000033F8: E05C1400 800474AD
	buffer_load_dword v158, v180, s[24:27], 0 offen            // 000000003400: E0501000 80069EB4
	s_waitcnt vmcnt(15)                                        // 000000003408: BF8C0F7F
	s_barrier                                                  // 00000000340C: BF8A0000
	ds_read_b128 v[8:11], v162                                 // 000000003410: D9FE0000 080000A2
	ds_read_b128 v[16:19], v162 offset:64                      // 000000003418: D9FE0040 100000A2
	ds_read_b128 v[12:15], v162 offset:512                     // 000000003420: D9FE0200 0C0000A2
	ds_read_b128 v[20:23], v162 offset:576                     // 000000003428: D9FE0240 140000A2
	ds_read_b32 v152, v167                                     // 000000003430: D86C0000 980000A7
	ds_read_b128 v[24:27], v163                                // 000000003438: D9FE0000 180000A3
	ds_read_b128 v[32:35], v163 offset:64                      // 000000003440: D9FE0040 200000A3
	ds_read_b128 v[28:31], v163 offset:512                     // 000000003448: D9FE0200 1C0000A3
	ds_read_b128 v[36:39], v163 offset:576                     // 000000003450: D9FE0240 240000A3
	ds_read_b32 v153, v167 offset:1024                         // 000000003458: D86C0400 990000A7
	s_nop 0                                                    // 000000003460: BF800000
	s_nop 0                                                    // 000000003464: BF800000
	;; [unrolled: 1-line block ×3, first 2 shown]
	s_nop 0                                                    // 00000000346C: BF800000
	s_nop 0                                                    // 000000003470: BF800000
	s_lshl_b32 s36, s36, 1                                     // 000000003474: 8E248124
	s_mul_i32 s62, s48, 32                                     // 000000003478: 923EA030
	s_mul_hi_u32 s63, s36, s62                                 // 00000000347C: 963F3E24
	s_add_u32 s5, s5, s63                                      // 000000003480: 80053F05
	s_mul_i32 s63, s36, s62                                    // 000000003484: 923F3E24
	s_add_u32 s4, s4, s63                                      // 000000003488: 80043F04
	s_addc_u32 s5, s5, 0                                       // 00000000348C: 82058005
	s_mul_i32 s63, s47, 0x280                                  // 000000003490: 923FFF2F 00000280
	s_lshl_b32 s63, s63, 1                                     // 000000003498: 8E3F813F
	s_add_u32 s4, s4, s63                                      // 00000000349C: 80043F04
	s_addc_u32 s5, s5, 0                                       // 0000000034A0: 82058005
	s_sub_i32 s62, s43, s62                                    // 0000000034A4: 81BE3E2B
	s_cmp_lt_u32 s62, 32                                       // 0000000034A8: BF0AA03E
	s_cselect_b32 s62, s62, 32                                 // 0000000034AC: 853EA03E
	s_mul_i32 s62, s36, s62                                    // 0000000034B0: 923E3E24
	s_sub_i32 s6, s62, s63                                     // 0000000034B4: 81863F3E
	s_mov_b32 s7, 0x20000                                      // 0000000034B8: BE8700FF 00020000
	s_mul_i32 s62, s46, 0xa0                                   // 0000000034C0: 923EFF2E 000000A0
	s_lshl_b32 s62, s62, 1                                     // 0000000034C8: 8E3E813E
	v_lshrrev_b32_e32 v4, 5, v0                                // 0000000034CC: 20080085
	v_mul_i32_i24_e32 v4, 16, v4                               // 0000000034D0: 0C080890
	v_lshrrev_b32_e32 v5, 4, v0                                // 0000000034D4: 200A0084
	v_and_b32_e32 v5, 1, v5                                    // 0000000034D8: 260A0A81
	v_mul_i32_i24_e32 v5, 32, v5                               // 0000000034DC: 0C0A0AA0
	v_add_u32_e32 v4, v4, v5                                   // 0000000034E0: 68080B04
	v_and_b32_e32 v5, 15, v0                                   // 0000000034E4: 260A008F
	v_mul_lo_u32 v183, s36, v5                                 // 0000000034E8: D28500B7 00020A24
	v_add_u32_e32 v183, s62, v183                              // 0000000034F0: 696F6E3E
	v_add_u32_e32 v183, v4, v183                               // 0000000034F4: 696F6F04
	s_cmp_lt_i32 s46, 2                                        // 0000000034F8: BF04822E
	s_cbranch_scc0 label_064B                                  // 0000000034FC: BF84040B

0000000000003500 <label_0240>:
	s_waitcnt vmcnt(10) lgkmcnt(5)                             // 000000003500: BF8C057A
	v_mfma_scale_f32_16x16x128_f8f6f4 a[0:3], v[72:75], v[8:11], a[0:3], v156, v152 op_sel_hi:[0,0,0] cbsz:4 blgp:4// 000000003504: D3AC6000 0003319C D3AD8C00 84021148
	v_mfma_scale_f32_16x16x128_f8f6f4 a[4:7], v[72:75], v[12:15], a[4:7], v156, v152 op_sel_hi:[0,0,0] cbsz:4 blgp:4// 000000003514: D3AC7000 0003319C D3AD8C04 84121948
	buffer_load_dwordx4 v[120:123], v174, s[16:19], 0 offen    // 000000003524: E05C1000 800478AE
	v_mfma_scale_f32_16x16x128_f8f6f4 a[8:11], v[76:79], v[8:11], a[8:11], v156, v152 op_sel_hi:[0,0,0] cbsz:4 blgp:4// 00000000352C: D3AC6800 0003319C D3AD8C08 8422114C
	v_mfma_scale_f32_16x16x128_f8f6f4 a[12:15], v[76:79], v[12:15], a[12:15], v156, v152 op_sel_hi:[0,0,0] cbsz:4 blgp:4// 00000000353C: D3AC1800 0003319C D3AD8C0C 8432194C
	buffer_load_dwordx4 v[124:127], v175, s[16:19], 0 offen    // 00000000354C: E05C1000 80047CAF
	v_mfma_scale_f32_16x16x128_f8f6f4 a[0:3], v[80:83], v[16:19], a[0:3], v156, v152 op_sel_hi:[0,0,0] cbsz:4 blgp:4// 000000003554: D3AC6000 1803319C D3AD8C00 84022150
	v_mfma_scale_f32_16x16x128_f8f6f4 a[4:7], v[80:83], v[20:23], a[4:7], v156, v152 op_sel_hi:[0,0,0] cbsz:4 blgp:4// 000000003564: D3AC7000 1803319C D3AD8C04 84122950
	buffer_load_dwordx4 v[128:131], v174, s[16:19], 0 offen offset:1024// 000000003574: E05C1400 800480AE
	v_mfma_scale_f32_16x16x128_f8f6f4 a[8:11], v[84:87], v[16:19], a[8:11], v156, v152 op_sel_hi:[0,0,0] cbsz:4 blgp:4// 00000000357C: D3AC6800 1803319C D3AD8C08 84222154
	v_mfma_scale_f32_16x16x128_f8f6f4 a[12:15], v[84:87], v[20:23], a[12:15], v156, v152 op_sel_hi:[0,0,0] cbsz:4 blgp:4// 00000000358C: D3AC7800 1803319C D3AD8C0C 84322954
	buffer_load_dwordx4 v[132:135], v175, s[16:19], 0 offen offset:1024// 00000000359C: E05C1400 800484AF
	buffer_load_dword v159, v181, s[24:27], 0 offen            // 0000000035A4: E0501000 80069FB5
	s_waitcnt vmcnt(10)                                        // 0000000035AC: BF8C0F7A
	v_mfma_scale_f32_16x16x128_f8f6f4 a[16:19], v[88:91], v[8:11], a[16:19], v157, v152 op_sel_hi:[0,0,0] cbsz:4 blgp:4// 0000000035B0: D3AC6000 0003319D D3AD8C10 84421158
	s_add_u32 s63, 0x100, s60                                  // 0000000035C0: 803F3CFF 00000100
	s_cmp_lt_u32 s63, s61                                      // 0000000035C8: BF0A3D3F
	v_mfma_scale_f32_16x16x128_f8f6f4 a[20:23], v[88:91], v[12:15], a[20:23], v157, v152 op_sel_hi:[0,0,0] cbsz:4 blgp:4// 0000000035CC: D3AC7000 0003319D D3AD8C14 84521958
	s_cselect_b32 s67, s67, 0                                  // 0000000035DC: 85438043
	buffer_load_dwordx4 v[136:139], v176, s[16:19], 0 offen    // 0000000035E0: E05C1000 800488B0
	v_mfma_scale_f32_16x16x128_f8f6f4 a[24:27], v[92:95], v[8:11], a[24:27], v157, v152 op_sel_hi:[0,0,0] cbsz:4 blgp:4// 0000000035E8: D3AC6800 0003319D D3AD8C18 8462115C
	s_cselect_b32 s69, s69, 0                                  // 0000000035F8: 85458045
	v_mfma_scale_f32_16x16x128_f8f6f4 a[28:31], v[92:95], v[12:15], a[28:31], v157, v152 op_sel_hi:[0,0,0] cbsz:4 blgp:4// 0000000035FC: D3AC7800 0003319D D3AD8C1C 8472195C
	buffer_load_dwordx4 v[140:143], v177, s[16:19], 0 offen    // 00000000360C: E05C1000 80048CB1
	v_mfma_scale_f32_16x16x128_f8f6f4 a[16:19], v[96:99], v[16:19], a[16:19], v157, v152 op_sel_hi:[0,0,0] cbsz:4 blgp:4// 000000003614: D3AC6000 1803319D D3AD8C10 84422160
	v_mfma_scale_f32_16x16x128_f8f6f4 a[20:23], v[96:99], v[20:23], a[20:23], v157, v152 op_sel_hi:[0,0,0] cbsz:4 blgp:4// 000000003624: D3AC7000 1803319D D3AD8C14 84522960
	buffer_load_dwordx4 v[144:147], v176, s[16:19], 0 offen offset:1024// 000000003634: E05C1400 800490B0
	v_mfma_scale_f32_16x16x128_f8f6f4 a[24:27], v[100:103], v[16:19], a[24:27], v157, v152 op_sel_hi:[0,0,0] cbsz:4 blgp:4// 00000000363C: D3AC6800 1803319D D3AD8C18 84622164
	v_mfma_scale_f32_16x16x128_f8f6f4 a[28:31], v[100:103], v[20:23], a[28:31], v157, v152 op_sel_hi:[0,0,0] cbsz:4 blgp:4// 00000000364C: D3AC7800 1803319D D3AD8C1C 84722964
	buffer_load_dwordx4 v[148:151], v177, s[16:19], 0 offen offset:1024// 00000000365C: E05C1400 800494B1
	buffer_load_dword v160, v182, s[24:27], 0 offen            // 000000003664: E0501000 8006A0B6
	s_add_u32 s16, s16, s67                                    // 00000000366C: 80104310
	s_addc_u32 s17, 0, s17                                     // 000000003670: 82111180
	s_sub_u32 s18, s18, s67                                    // 000000003674: 80924312
	s_add_u32 s24, s24, s69                                    // 000000003678: 80184518
	s_addc_u32 s25, 0, s25                                     // 00000000367C: 82191980
	s_sub_u32 s26, s26, s69                                    // 000000003680: 809A451A
	s_add_u32 m0, 0x800, s65                                   // 000000003684: 807C41FF 00000800
	buffer_load_dword v166, s[20:23], 0 offen lds              // 00000000368C: E0511000 800500A6
	s_waitcnt vmcnt(11)                                        // 000000003694: BF8C0F7B
	v_mfma_scale_f32_16x16x128_f8f6f4 a[32:35], v[104:107], v[8:11], a[32:35], v158, v152 op_sel_hi:[0,0,0] cbsz:4 blgp:4// 000000003698: D3AC6000 0003319E D3AD8C20 84821168
	v_mfma_scale_f32_16x16x128_f8f6f4 a[36:39], v[104:107], v[12:15], a[36:39], v158, v152 op_sel_hi:[0,0,0] cbsz:4 blgp:4// 0000000036A8: D3AC7000 0003319E D3AD8C24 84921968
	s_add_u32 m0, 0x2100, s64                                  // 0000000036B8: 807C40FF 00002100
	buffer_load_dwordx4 v161, s[12:15], 0 offen lds            // 0000000036C0: E05D1000 800300A1
	v_mfma_scale_f32_16x16x128_f8f6f4 a[40:43], v[108:111], v[8:11], a[40:43], v158, v152 op_sel_hi:[0,0,0] cbsz:4 blgp:4// 0000000036C8: D3AC6800 0003319E D3AD8C28 84A2116C
	s_add_u32 s62, 0x300, s60                                  // 0000000036D8: 803E3CFF 00000300
	s_cmp_lt_u32 s62, s61                                      // 0000000036E0: BF0A3D3E
	v_mfma_scale_f32_16x16x128_f8f6f4 a[44:47], v[108:111], v[12:15], a[44:47], v158, v152 op_sel_hi:[0,0,0] cbsz:4 blgp:4// 0000000036E4: D3AC7800 0003319E D3AD8C2C 84B2196C
	s_cselect_b32 s66, s66, 0                                  // 0000000036F4: 85428042
	buffer_load_dwordx4 v[72:75], v168, s[16:19], 0 offen      // 0000000036F8: E05C1000 800448A8
	v_mfma_scale_f32_16x16x128_f8f6f4 a[32:35], v[112:115], v[16:19], a[32:35], v158, v152 op_sel_hi:[0,0,0] cbsz:4 blgp:4// 000000003700: D3AC6000 1803319E D3AD8C20 84822170
	s_cselect_b32 s68, s68, 0                                  // 000000003710: 85448044
	s_add_u32 s12, s12, s66                                    // 000000003714: 800C420C
	v_mfma_scale_f32_16x16x128_f8f6f4 a[36:39], v[112:115], v[20:23], a[36:39], v158, v152 op_sel_hi:[0,0,0] cbsz:4 blgp:4// 000000003718: D3AC7000 1803319E D3AD8C24 84922970
	s_addc_u32 s13, 0, s13                                     // 000000003728: 820D0D80
	buffer_load_dwordx4 v[76:79], v169, s[16:19], 0 offen      // 00000000372C: E05C1000 80044CA9
	v_mfma_scale_f32_16x16x128_f8f6f4 a[40:43], v[116:119], v[16:19], a[40:43], v158, v152 op_sel_hi:[0,0,0] cbsz:4 blgp:4// 000000003734: D3AC6800 1803319E D3AD8C28 84A22174
	s_sub_u32 s14, s14, s66                                    // 000000003744: 808E420E
	s_add_u32 s20, s20, s68                                    // 000000003748: 80144414
	v_mfma_scale_f32_16x16x128_f8f6f4 a[44:47], v[116:119], v[20:23], a[44:47], v158, v152 op_sel_hi:[0,0,0] cbsz:4 blgp:4// 00000000374C: D3AC7800 1803319E D3AD8C2C 84B22974
	s_addc_u32 s21, 0, s21                                     // 00000000375C: 82151580
	buffer_load_dwordx4 v[80:83], v168, s[16:19], 0 offen offset:1024// 000000003760: E05C1400 800450A8
	s_sub_u32 s22, s22, s68                                    // 000000003768: 80964416
	buffer_load_dwordx4 v[84:87], v169, s[16:19], 0 offen offset:1024// 00000000376C: E05C1400 800454A9
	buffer_load_dword v156, v178, s[24:27], 0 offen            // 000000003774: E0501000 80069CB2
	s_waitcnt vmcnt(12)                                        // 00000000377C: BF8C0F7C
	v_mfma_scale_f32_16x16x128_f8f6f4 a[48:51], v[120:123], v[8:11], a[48:51], v159, v152 op_sel_hi:[0,0,0] cbsz:4 blgp:4// 000000003780: D3AC6000 0003319F D3AD8C30 84C21178
	v_mfma_scale_f32_16x16x128_f8f6f4 a[52:55], v[120:123], v[12:15], a[52:55], v159, v152 op_sel_hi:[0,0,0] cbsz:4 blgp:4// 000000003790: D3AC7000 0003319F D3AD8C34 84D21978
	buffer_load_dwordx4 v[88:91], v170, s[16:19], 0 offen      // 0000000037A0: E05C1000 800458AA
	v_mfma_scale_f32_16x16x128_f8f6f4 a[56:59], v[124:127], v[8:11], a[56:59], v159, v152 op_sel_hi:[0,0,0] cbsz:4 blgp:4// 0000000037A8: D3AC6800 0003319F D3AD8C38 84E2117C
	v_mfma_scale_f32_16x16x128_f8f6f4 a[60:63], v[124:127], v[12:15], a[60:63], v159, v152 op_sel_hi:[0,0,0] cbsz:4 blgp:4// 0000000037B8: D3AC7800 0003319F D3AD8C3C 84F2197C
	buffer_load_dwordx4 v[92:95], v171, s[16:19], 0 offen      // 0000000037C8: E05C1000 80045CAB
	v_mfma_scale_f32_16x16x128_f8f6f4 a[48:51], v[128:131], v[16:19], a[48:51], v159, v152 op_sel_hi:[0,0,0] cbsz:4 blgp:4// 0000000037D0: D3AC6000 1803319F D3AD8C30 84C22180
	v_mfma_scale_f32_16x16x128_f8f6f4 a[52:55], v[128:131], v[20:23], a[52:55], v159, v152 op_sel_hi:[0,0,0] cbsz:4 blgp:4// 0000000037E0: D3AC7000 1803319F D3AD8C34 84D22980
	buffer_load_dwordx4 v[96:99], v170, s[16:19], 0 offen offset:1024// 0000000037F0: E05C1400 800460AA
	v_mfma_scale_f32_16x16x128_f8f6f4 a[56:59], v[132:135], v[16:19], a[56:59], v159, v152 op_sel_hi:[0,0,0] cbsz:4 blgp:4// 0000000037F8: D3AC6800 1803319F D3AD8C38 84E22184
	v_mfma_scale_f32_16x16x128_f8f6f4 a[60:63], v[132:135], v[20:23], a[60:63], v159, v152 op_sel_hi:[0,0,0] cbsz:4 blgp:4// 000000003808: D3AC7800 1803319F D3AD8C3C 84F22984
	buffer_load_dwordx4 v[100:103], v171, s[16:19], 0 offen offset:1024// 000000003818: E05C1400 800464AB
	buffer_load_dword v157, v179, s[24:27], 0 offen            // 000000003820: E0501000 80069DB3
	s_waitcnt vmcnt(10)                                        // 000000003828: BF8C0F7A
	s_barrier                                                  // 00000000382C: BF8A0000
	v_mfma_scale_f32_16x16x128_f8f6f4 a[64:67], v[136:139], v[8:11], a[64:67], v160, v152 op_sel_hi:[0,0,0] cbsz:4 blgp:4// 000000003830: D3AC6000 000331A0 D3AD8C40 85021188
	s_addk_i32 s60, 0x100                                      // 000000003840: B73C0100
	ds_read_b128 v[40:43], v164                                // 000000003844: D9FE0000 280000A4
	v_mfma_scale_f32_16x16x128_f8f6f4 a[68:71], v[136:139], v[12:15], a[68:71], v160, v152 op_sel_hi:[0,0,0] cbsz:4 blgp:4// 00000000384C: D3AC7000 000331A0 D3AD8C44 85121988
	s_cmp_lt_i32 s60, s61                                      // 00000000385C: BF043D3C
	buffer_load_dwordx4 v[104:107], v172, s[16:19], 0 offen    // 000000003860: E05C1000 800468AC
	v_mfma_scale_f32_16x16x128_f8f6f4 a[72:75], v[140:143], v[8:11], a[72:75], v160, v152 op_sel_hi:[0,0,0] cbsz:4 blgp:4// 000000003868: D3AC6800 000331A0 D3AD8C48 8522118C
	ds_read_b128 v[48:51], v164 offset:64                      // 000000003878: D9FE0040 300000A4
	v_mfma_scale_f32_16x16x128_f8f6f4 a[76:79], v[140:143], v[12:15], a[76:79], v160, v152 op_sel_hi:[0,0,0] cbsz:4 blgp:4// 000000003880: D3AC7800 000331A0 D3AD8C4C 8532198C
	buffer_load_dwordx4 v[108:111], v173, s[16:19], 0 offen    // 000000003890: E05C1000 80046CAD
	v_mfma_scale_f32_16x16x128_f8f6f4 a[64:67], v[144:147], v[16:19], a[64:67], v160, v152 op_sel_hi:[0,0,0] cbsz:4 blgp:4// 000000003898: D3AC6000 180331A0 D3AD8C40 85022190
	ds_read_b128 v[44:47], v164 offset:512                     // 0000000038A8: D9FE0200 2C0000A4
	v_mfma_scale_f32_16x16x128_f8f6f4 a[68:71], v[144:147], v[20:23], a[68:71], v160, v152 op_sel_hi:[0,0,0] cbsz:4 blgp:4// 0000000038B0: D3AC7000 180331A0 D3AD8C44 85122990
	buffer_load_dwordx4 v[112:115], v172, s[16:19], 0 offen offset:1024// 0000000038C0: E05C1400 800470AC
	v_mfma_scale_f32_16x16x128_f8f6f4 a[72:75], v[148:151], v[16:19], a[72:75], v160, v152 op_sel_hi:[0,0,0] cbsz:4 blgp:4// 0000000038C8: D3AC6800 180331A0 D3AD8C48 85222194
	ds_read_b128 v[52:55], v164 offset:576                     // 0000000038D8: D9FE0240 340000A4
	v_mfma_scale_f32_16x16x128_f8f6f4 a[76:79], v[148:151], v[20:23], a[76:79], v160, v152 op_sel_hi:[0,0,0] cbsz:4 blgp:4// 0000000038E0: D3AC7800 180331A0 D3AD8C4C 85322994
	buffer_load_dwordx4 v[116:119], v173, s[16:19], 0 offen offset:1024// 0000000038F0: E05C1400 800474AD
	ds_read_b32 v154, v167 offset:2048                         // 0000000038F8: D86C0800 9A0000A7
	buffer_load_dword v158, v180, s[24:27], 0 offen            // 000000003900: E0501000 80069EB4
	s_cbranch_scc0 label_0A56                                  // 000000003908: BF840713
	s_waitcnt vmcnt(10) lgkmcnt(5)                             // 00000000390C: BF8C057A
	v_mfma_scale_f32_16x16x128_f8f6f4 a[0:3], v[72:75], v[24:27], a[0:3], v156, v153 op_sel_hi:[0,0,0] cbsz:4 blgp:4// 000000003910: D3AC6000 0003339C D3AD8C00 84023148
	v_mfma_scale_f32_16x16x128_f8f6f4 a[4:7], v[72:75], v[28:31], a[4:7], v156, v153 op_sel_hi:[0,0,0] cbsz:4 blgp:4// 000000003920: D3AC7000 0003339C D3AD8C04 84123948
	buffer_load_dwordx4 v[120:123], v174, s[16:19], 0 offen    // 000000003930: E05C1000 800478AE
	v_mfma_scale_f32_16x16x128_f8f6f4 a[8:11], v[76:79], v[24:27], a[8:11], v156, v153 op_sel_hi:[0,0,0] cbsz:4 blgp:4// 000000003938: D3AC6800 0003339C D3AD8C08 8422314C
	v_mfma_scale_f32_16x16x128_f8f6f4 a[12:15], v[76:79], v[28:31], a[12:15], v156, v153 op_sel_hi:[0,0,0] cbsz:4 blgp:4// 000000003948: D3AC7800 0003339C D3AD8C0C 8432394C
	buffer_load_dwordx4 v[124:127], v175, s[16:19], 0 offen    // 000000003958: E05C1000 80047CAF
	v_mfma_scale_f32_16x16x128_f8f6f4 a[0:3], v[80:83], v[32:35], a[0:3], v156, v153 op_sel_hi:[0,0,0] cbsz:4 blgp:4// 000000003960: D3AC4000 1803339C D3AD8C00 84024150
	v_mfma_scale_f32_16x16x128_f8f6f4 a[4:7], v[80:83], v[36:39], a[4:7], v156, v153 op_sel_hi:[0,0,0] cbsz:4 blgp:4// 000000003970: D3AC7000 1803339C D3AD8C04 84124950
	buffer_load_dwordx4 v[128:131], v174, s[16:19], 0 offen offset:1024// 000000003980: E05C1400 800480AE
	v_mfma_scale_f32_16x16x128_f8f6f4 a[8:11], v[84:87], v[32:35], a[8:11], v156, v153 op_sel_hi:[0,0,0] cbsz:4 blgp:4// 000000003988: D3AC6800 1803339C D3AD8C08 84224154
	v_mfma_scale_f32_16x16x128_f8f6f4 a[12:15], v[84:87], v[36:39], a[12:15], v156, v153 op_sel_hi:[0,0,0] cbsz:4 blgp:4// 000000003998: D3AC7800 1803339C D3AD8C0C 84324954
	buffer_load_dwordx4 v[132:135], v175, s[16:19], 0 offen offset:1024// 0000000039A8: E05C1400 800484AF
	buffer_load_dword v159, v181, s[24:27], 0 offen            // 0000000039B0: E0501000 80069FB5
	s_waitcnt vmcnt(10)                                        // 0000000039B8: BF8C0F7A
	v_mfma_scale_f32_16x16x128_f8f6f4 a[16:19], v[88:91], v[24:27], a[16:19], v157, v153 op_sel_hi:[0,0,0] cbsz:4 blgp:4// 0000000039BC: D3AC6000 0003339D D3AD8C10 84423158
	s_add_u32 s63, 0x100, s60                                  // 0000000039CC: 803F3CFF 00000100
	s_cmp_lt_u32 s63, s61                                      // 0000000039D4: BF0A3D3F
	v_mfma_scale_f32_16x16x128_f8f6f4 a[20:23], v[88:91], v[28:31], a[20:23], v157, v153 op_sel_hi:[0,0,0] cbsz:4 blgp:4// 0000000039D8: D3AC7000 0003339D D3AD8C14 84523958
	s_cselect_b32 s67, s67, 0                                  // 0000000039E8: 85438043
	buffer_load_dwordx4 v[136:139], v176, s[16:19], 0 offen    // 0000000039EC: E05C1000 800488B0
	v_mfma_scale_f32_16x16x128_f8f6f4 a[24:27], v[92:95], v[24:27], a[24:27], v157, v153 op_sel_hi:[0,0,0] cbsz:4 blgp:4// 0000000039F4: D3AC6800 0003339D D3AD8C18 8462315C
	s_cselect_b32 s69, s69, 0                                  // 000000003A04: 85458045
	v_mfma_scale_f32_16x16x128_f8f6f4 a[28:31], v[92:95], v[28:31], a[28:31], v157, v153 op_sel_hi:[0,0,0] cbsz:4 blgp:4// 000000003A08: D3AC7800 0003339D D3AD8C1C 8472395C
	buffer_load_dwordx4 v[140:143], v177, s[16:19], 0 offen    // 000000003A18: E05C1000 80048CB1
	v_mfma_scale_f32_16x16x128_f8f6f4 a[16:19], v[96:99], v[32:35], a[16:19], v157, v153 op_sel_hi:[0,0,0] cbsz:4 blgp:4// 000000003A20: D3AC6000 1803339D D3AD8C10 84424160
	v_mfma_scale_f32_16x16x128_f8f6f4 a[20:23], v[96:99], v[36:39], a[20:23], v157, v153 op_sel_hi:[0,0,0] cbsz:4 blgp:4// 000000003A30: D3AC7000 1803339D D3AD8C14 84524960
	buffer_load_dwordx4 v[144:147], v176, s[16:19], 0 offen offset:1024// 000000003A40: E05C1400 800490B0
	v_mfma_scale_f32_16x16x128_f8f6f4 a[24:27], v[100:103], v[32:35], a[24:27], v157, v153 op_sel_hi:[0,0,0] cbsz:4 blgp:4// 000000003A48: D3AC6800 1803339D D3AD8C18 84624164
	v_mfma_scale_f32_16x16x128_f8f6f4 a[28:31], v[100:103], v[36:39], a[28:31], v157, v153 op_sel_hi:[0,0,0] cbsz:4 blgp:4// 000000003A58: D3AC7800 1803339D D3AD8C1C 84724964
	buffer_load_dwordx4 v[148:151], v177, s[16:19], 0 offen offset:1024// 000000003A68: E05C1400 800494B1
	buffer_load_dword v160, v182, s[24:27], 0 offen            // 000000003A70: E0501000 8006A0B6
	s_add_u32 s16, s16, s67                                    // 000000003A78: 80104310
	s_addc_u32 s17, 0, s17                                     // 000000003A7C: 82111180
	s_sub_u32 s18, s18, s67                                    // 000000003A80: 80924312
	s_add_u32 s24, s24, s69                                    // 000000003A84: 80184518
	s_addc_u32 s25, 0, s25                                     // 000000003A88: 82191980
	s_sub_u32 s26, s26, s69                                    // 000000003A8C: 809A451A
	s_add_u32 m0, 0xc00, s65                                   // 000000003A90: 807C41FF 00000C00
	buffer_load_dword v166, s[20:23], 0 offen lds              // 000000003A98: E0511000 800500A6
	s_waitcnt vmcnt(11)                                        // 000000003AA0: BF8C0F7B
	v_mfma_scale_f32_16x16x128_f8f6f4 a[32:35], v[104:107], v[24:27], a[32:35], v158, v153 op_sel_hi:[0,0,0] cbsz:4 blgp:4// 000000003AA4: D3AC6000 0003339E D3AD8C20 84823168
	v_mfma_scale_f32_16x16x128_f8f6f4 a[36:39], v[104:107], v[28:31], a[36:39], v158, v153 op_sel_hi:[0,0,0] cbsz:4 blgp:4// 000000003AB4: D3AC7000 0003339E D3AD8C24 84923968
	s_add_u32 m0, 0x3180, s64                                  // 000000003AC4: 807C40FF 00003180
	buffer_load_dwordx4 v161, s[12:15], 0 offen lds            // 000000003ACC: E05D1000 800300A1
	v_mfma_scale_f32_16x16x128_f8f6f4 a[40:43], v[108:111], v[24:27], a[40:43], v158, v153 op_sel_hi:[0,0,0] cbsz:4 blgp:4// 000000003AD4: D3AC6800 0003339E D3AD8C28 84A2316C
	s_add_u32 s62, 0x300, s60                                  // 000000003AE4: 803E3CFF 00000300
	s_cmp_lt_u32 s62, s61                                      // 000000003AEC: BF0A3D3E
	v_mfma_scale_f32_16x16x128_f8f6f4 a[44:47], v[108:111], v[28:31], a[44:47], v158, v153 op_sel_hi:[0,0,0] cbsz:4 blgp:4// 000000003AF0: D3AC7800 0003339E D3AD8C2C 84B2396C
	s_cselect_b32 s66, s66, 0                                  // 000000003B00: 85428042
	buffer_load_dwordx4 v[72:75], v168, s[16:19], 0 offen      // 000000003B04: E05C1000 800448A8
	v_mfma_scale_f32_16x16x128_f8f6f4 a[32:35], v[112:115], v[32:35], a[32:35], v158, v153 op_sel_hi:[0,0,0] cbsz:4 blgp:4// 000000003B0C: D3AC6000 1803339E D3AD8C20 84824170
	s_cselect_b32 s68, s68, 0                                  // 000000003B1C: 85448044
	s_add_u32 s12, s12, s66                                    // 000000003B20: 800C420C
	v_mfma_scale_f32_16x16x128_f8f6f4 a[36:39], v[112:115], v[36:39], a[36:39], v158, v153 op_sel_hi:[0,0,0] cbsz:4 blgp:4// 000000003B24: D3AC7000 1803339E D3AD8C24 84924970
	s_addc_u32 s13, 0, s13                                     // 000000003B34: 820D0D80
	buffer_load_dwordx4 v[76:79], v169, s[16:19], 0 offen      // 000000003B38: E05C1000 80044CA9
	v_mfma_scale_f32_16x16x128_f8f6f4 a[40:43], v[116:119], v[32:35], a[40:43], v158, v153 op_sel_hi:[0,0,0] cbsz:4 blgp:4// 000000003B40: D3AC6800 1803339E D3AD8C28 84A24174
	s_sub_u32 s14, s14, s66                                    // 000000003B50: 808E420E
	s_add_u32 s20, s20, s68                                    // 000000003B54: 80144414
	v_mfma_scale_f32_16x16x128_f8f6f4 a[44:47], v[116:119], v[36:39], a[44:47], v158, v153 op_sel_hi:[0,0,0] cbsz:4 blgp:4// 000000003B58: D3AC7800 1803339E D3AD8C2C 84B24974
	s_addc_u32 s21, 0, s21                                     // 000000003B68: 82151580
	buffer_load_dwordx4 v[80:83], v168, s[16:19], 0 offen offset:1024// 000000003B6C: E05C1400 800450A8
	s_sub_u32 s22, s22, s68                                    // 000000003B74: 80964416
	buffer_load_dwordx4 v[84:87], v169, s[16:19], 0 offen offset:1024// 000000003B78: E05C1400 800454A9
	buffer_load_dword v156, v178, s[24:27], 0 offen            // 000000003B80: E0501000 80069CB2
	s_waitcnt vmcnt(12)                                        // 000000003B88: BF8C0F7C
	v_mfma_scale_f32_16x16x128_f8f6f4 a[48:51], v[120:123], v[24:27], a[48:51], v159, v153 op_sel_hi:[0,0,0] cbsz:4 blgp:4// 000000003B8C: D3AC6000 0003339F D3AD8C30 84C23178
	v_mfma_scale_f32_16x16x128_f8f6f4 a[52:55], v[120:123], v[28:31], a[52:55], v159, v153 op_sel_hi:[0,0,0] cbsz:4 blgp:4// 000000003B9C: D3AC7000 0003339F D3AD8C34 84D23978
	buffer_load_dwordx4 v[88:91], v170, s[16:19], 0 offen      // 000000003BAC: E05C1000 800458AA
	v_mfma_scale_f32_16x16x128_f8f6f4 a[56:59], v[124:127], v[24:27], a[56:59], v159, v153 op_sel_hi:[0,0,0] cbsz:4 blgp:4// 000000003BB4: D3AC6800 0003339F D3AD8C38 84E2317C
	v_mfma_scale_f32_16x16x128_f8f6f4 a[60:63], v[124:127], v[28:31], a[60:63], v159, v153 op_sel_hi:[0,0,0] cbsz:4 blgp:4// 000000003BC4: D3AC7800 0003339F D3AD8C3C 84F2397C
	buffer_load_dwordx4 v[92:95], v171, s[16:19], 0 offen      // 000000003BD4: E05C1000 80045CAB
	v_mfma_scale_f32_16x16x128_f8f6f4 a[48:51], v[128:131], v[32:35], a[48:51], v159, v153 op_sel_hi:[0,0,0] cbsz:4 blgp:4// 000000003BDC: D3AC6000 1803339F D3AD8C30 84C24180
	v_mfma_scale_f32_16x16x128_f8f6f4 a[52:55], v[128:131], v[36:39], a[52:55], v159, v153 op_sel_hi:[0,0,0] cbsz:4 blgp:4// 000000003BEC: D3AC7000 1803339F D3AD8C34 84D24980
	buffer_load_dwordx4 v[96:99], v170, s[16:19], 0 offen offset:1024// 000000003BFC: E05C1400 800460AA
	v_mfma_scale_f32_16x16x128_f8f6f4 a[56:59], v[132:135], v[32:35], a[56:59], v159, v153 op_sel_hi:[0,0,0] cbsz:4 blgp:4// 000000003C04: D3AC6800 1803339F D3AD8C38 84E24184
	v_mfma_scale_f32_16x16x128_f8f6f4 a[60:63], v[132:135], v[36:39], a[60:63], v159, v153 op_sel_hi:[0,0,0] cbsz:4 blgp:4// 000000003C14: D3AC5800 1803339F D3AD8C3C 84F24984
	buffer_load_dwordx4 v[100:103], v171, s[16:19], 0 offen offset:1024// 000000003C24: E05C1400 800464AB
	buffer_load_dword v157, v179, s[24:27], 0 offen            // 000000003C2C: E0501000 80069DB3
	s_waitcnt vmcnt(10)                                        // 000000003C34: BF8C0F7A
	s_barrier                                                  // 000000003C38: BF8A0000
	v_mfma_scale_f32_16x16x128_f8f6f4 a[64:67], v[136:139], v[24:27], a[64:67], v160, v153 op_sel_hi:[0,0,0] cbsz:4 blgp:4// 000000003C3C: D3AC6000 000333A0 D3AD8C40 85023188
	s_addk_i32 s60, 0x100                                      // 000000003C4C: B73C0100
	ds_read_b128 v[56:59], v165                                // 000000003C50: D9FE0000 380000A5
	v_mfma_scale_f32_16x16x128_f8f6f4 a[68:71], v[136:139], v[28:31], a[68:71], v160, v153 op_sel_hi:[0,0,0] cbsz:4 blgp:4// 000000003C58: D3AC5000 000333A0 D3AD8C44 85123988
	s_cmp_lt_i32 s60, s61                                      // 000000003C68: BF043D3C
	buffer_load_dwordx4 v[104:107], v172, s[16:19], 0 offen    // 000000003C6C: E05C1000 800468AC
	v_mfma_scale_f32_16x16x128_f8f6f4 a[72:75], v[140:143], v[24:27], a[72:75], v160, v153 op_sel_hi:[0,0,0] cbsz:4 blgp:4// 000000003C74: D3AC6800 000333A0 D3AD8C48 8522318C
	ds_read_b128 v[64:67], v165 offset:64                      // 000000003C84: D9FE0040 400000A5
	v_mfma_scale_f32_16x16x128_f8f6f4 a[76:79], v[140:143], v[28:31], a[76:79], v160, v153 op_sel_hi:[0,0,0] cbsz:4 blgp:4// 000000003C8C: D3AC7800 000333A0 D3AD8C4C 8532398C
	buffer_load_dwordx4 v[108:111], v173, s[16:19], 0 offen    // 000000003C9C: E05C1000 80046CAD
	v_mfma_scale_f32_16x16x128_f8f6f4 a[64:67], v[144:147], v[32:35], a[64:67], v160, v153 op_sel_hi:[0,0,0] cbsz:4 blgp:4// 000000003CA4: D3AC6000 180333A0 D3AD8C40 85024190
	ds_read_b128 v[60:63], v165 offset:512                     // 000000003CB4: D9FE0200 3C0000A5
	v_mfma_scale_f32_16x16x128_f8f6f4 a[68:71], v[144:147], v[36:39], a[68:71], v160, v153 op_sel_hi:[0,0,0] cbsz:4 blgp:4// 000000003CBC: D3AC7000 180333A0 D3AD8C44 85124990
	buffer_load_dwordx4 v[112:115], v172, s[16:19], 0 offen offset:1024// 000000003CCC: E05C1400 800470AC
	v_mfma_scale_f32_16x16x128_f8f6f4 a[72:75], v[148:151], v[32:35], a[72:75], v160, v153 op_sel_hi:[0,0,0] cbsz:4 blgp:4// 000000003CD4: D3AC4800 180333A0 D3AD8C48 85224194
	ds_read_b128 v[68:71], v165 offset:576                     // 000000003CE4: D9FE0240 440000A5
	v_mfma_scale_f32_16x16x128_f8f6f4 a[76:79], v[148:151], v[36:39], a[76:79], v160, v153 op_sel_hi:[0,0,0] cbsz:4 blgp:4// 000000003CEC: D3AC7800 180333A0 D3AD8C4C 85324994
	buffer_load_dwordx4 v[116:119], v173, s[16:19], 0 offen offset:1024// 000000003CFC: E05C1400 800474AD
	ds_read_b32 v155, v167 offset:3072                         // 000000003D04: D86C0C00 9B0000A7
	buffer_load_dword v158, v180, s[24:27], 0 offen            // 000000003D0C: E0501000 80069EB4
	s_cbranch_scc0 label_0A56                                  // 000000003D14: BF840610
	s_waitcnt vmcnt(10) lgkmcnt(5)                             // 000000003D18: BF8C057A
	v_mfma_scale_f32_16x16x128_f8f6f4 a[0:3], v[72:75], v[40:43], a[0:3], v156, v154 op_sel_hi:[0,0,0] cbsz:4 blgp:4// 000000003D1C: D3AC6000 0003359C D3AD8C00 84025148
	v_mfma_scale_f32_16x16x128_f8f6f4 a[4:7], v[72:75], v[44:47], a[4:7], v156, v154 op_sel_hi:[0,0,0] cbsz:4 blgp:4// 000000003D2C: D3AC7000 0003359C D3AD8C04 84125948
	buffer_load_dwordx4 v[120:123], v174, s[16:19], 0 offen    // 000000003D3C: E05C1000 800478AE
	v_mfma_scale_f32_16x16x128_f8f6f4 a[8:11], v[76:79], v[40:43], a[8:11], v156, v154 op_sel_hi:[0,0,0] cbsz:4 blgp:4// 000000003D44: D3AC6800 0003359C D3AD8C08 8422514C
	v_mfma_scale_f32_16x16x128_f8f6f4 a[12:15], v[76:79], v[44:47], a[12:15], v156, v154 op_sel_hi:[0,0,0] cbsz:4 blgp:4// 000000003D54: D3AC5800 0003359C D3AD8C0C 8432594C
	buffer_load_dwordx4 v[124:127], v175, s[16:19], 0 offen    // 000000003D64: E05C1000 80047CAF
	v_mfma_scale_f32_16x16x128_f8f6f4 a[0:3], v[80:83], v[48:51], a[0:3], v156, v154 op_sel_hi:[0,0,0] cbsz:4 blgp:4// 000000003D6C: D3AC6000 1803359C D3AD8C00 84026150
	v_mfma_scale_f32_16x16x128_f8f6f4 a[4:7], v[80:83], v[52:55], a[4:7], v156, v154 op_sel_hi:[0,0,0] cbsz:4 blgp:4// 000000003D7C: D3AC5000 1803359C D3AD8C04 84126950
	buffer_load_dwordx4 v[128:131], v174, s[16:19], 0 offen offset:1024// 000000003D8C: E05C1400 800480AE
	v_mfma_scale_f32_16x16x128_f8f6f4 a[8:11], v[84:87], v[48:51], a[8:11], v156, v154 op_sel_hi:[0,0,0] cbsz:4 blgp:4// 000000003D94: D3AC6800 1803359C D3AD8C08 84226154
	v_mfma_scale_f32_16x16x128_f8f6f4 a[12:15], v[84:87], v[52:55], a[12:15], v156, v154 op_sel_hi:[0,0,0] cbsz:4 blgp:4// 000000003DA4: D3AC5800 1803359C D3AD8C0C 84326954
	buffer_load_dwordx4 v[132:135], v175, s[16:19], 0 offen offset:1024// 000000003DB4: E05C1400 800484AF
	buffer_load_dword v159, v181, s[24:27], 0 offen            // 000000003DBC: E0501000 80069FB5
	s_waitcnt vmcnt(10)                                        // 000000003DC4: BF8C0F7A
	v_mfma_scale_f32_16x16x128_f8f6f4 a[16:19], v[88:91], v[40:43], a[16:19], v157, v154 op_sel_hi:[0,0,0] cbsz:4 blgp:4// 000000003DC8: D3AC6000 0003359D D3AD8C10 84425158
	s_add_u32 s63, 0x100, s60                                  // 000000003DD8: 803F3CFF 00000100
	s_cmp_lt_u32 s63, s61                                      // 000000003DE0: BF0A3D3F
	v_mfma_scale_f32_16x16x128_f8f6f4 a[20:23], v[88:91], v[44:47], a[20:23], v157, v154 op_sel_hi:[0,0,0] cbsz:4 blgp:4// 000000003DE4: D3AC7000 0003359D D3AD8C14 84525958
	s_cselect_b32 s67, s67, 0                                  // 000000003DF4: 85438043
	buffer_load_dwordx4 v[136:139], v176, s[16:19], 0 offen    // 000000003DF8: E05C1000 800488B0
	v_mfma_scale_f32_16x16x128_f8f6f4 a[24:27], v[92:95], v[40:43], a[24:27], v157, v154 op_sel_hi:[0,0,0] cbsz:4 blgp:4// 000000003E00: D3AC6800 0003359D D3AD8C18 8462515C
	s_cselect_b32 s69, s69, 0                                  // 000000003E10: 85458045
	v_mfma_scale_f32_16x16x128_f8f6f4 a[28:31], v[92:95], v[44:47], a[28:31], v157, v154 op_sel_hi:[0,0,0] cbsz:4 blgp:4// 000000003E14: D3AC7800 0003359D D3AD8C1C 8472595C
	buffer_load_dwordx4 v[140:143], v177, s[16:19], 0 offen    // 000000003E24: E05C1000 80048CB1
	v_mfma_scale_f32_16x16x128_f8f6f4 a[16:19], v[96:99], v[48:51], a[16:19], v157, v154 op_sel_hi:[0,0,0] cbsz:4 blgp:4// 000000003E2C: D3AC6000 1803359D D3AD8C10 84426160
	v_mfma_scale_f32_16x16x128_f8f6f4 a[20:23], v[96:99], v[52:55], a[20:23], v157, v154 op_sel_hi:[0,0,0] cbsz:4 blgp:4// 000000003E3C: D3AC7000 1803359D D3AD8C14 84526960
	buffer_load_dwordx4 v[144:147], v176, s[16:19], 0 offen offset:1024// 000000003E4C: E05C1400 800490B0
	v_mfma_scale_f32_16x16x128_f8f6f4 a[24:27], v[100:103], v[48:51], a[24:27], v157, v154 op_sel_hi:[0,0,0] cbsz:4 blgp:4// 000000003E54: D3AC6800 1803359D D3AD8C18 84626164
	v_mfma_scale_f32_16x16x128_f8f6f4 a[28:31], v[100:103], v[52:55], a[28:31], v157, v154 op_sel_hi:[0,0,0] cbsz:4 blgp:4// 000000003E64: D3AC7800 1803359D D3AD8C1C 84726964
	buffer_load_dwordx4 v[148:151], v177, s[16:19], 0 offen offset:1024// 000000003E74: E05C1400 800494B1
	buffer_load_dword v160, v182, s[24:27], 0 offen            // 000000003E7C: E0501000 8006A0B6
	s_add_u32 s16, s16, s67                                    // 000000003E84: 80104310
	s_addc_u32 s17, 0, s17                                     // 000000003E88: 82111180
	s_sub_u32 s18, s18, s67                                    // 000000003E8C: 80924312
	s_add_u32 s24, s24, s69                                    // 000000003E90: 80184518
	s_addc_u32 s25, 0, s25                                     // 000000003E94: 82191980
	s_sub_u32 s26, s26, s69                                    // 000000003E98: 809A451A
	s_add_u32 m0, 0, s65                                       // 000000003E9C: 807C4180
	buffer_load_dword v166, s[20:23], 0 offen lds              // 000000003EA0: E0511000 800500A6
	s_waitcnt vmcnt(11)                                        // 000000003EA8: BF8C0F7B
	v_mfma_scale_f32_16x16x128_f8f6f4 a[32:35], v[104:107], v[40:43], a[32:35], v158, v154 op_sel_hi:[0,0,0] cbsz:4 blgp:4// 000000003EAC: D3AC6000 0003359E D3AD8C20 84825168
	v_mfma_scale_f32_16x16x128_f8f6f4 a[36:39], v[104:107], v[44:47], a[36:39], v158, v154 op_sel_hi:[0,0,0] cbsz:4 blgp:4// 000000003EBC: D3AC7000 0003359E D3AD8C24 84925968
	s_add_u32 m0, 0, s64                                       // 000000003ECC: 807C4080
	buffer_load_dwordx4 v161, s[12:15], 0 offen lds            // 000000003ED0: E05D1000 800300A1
	v_mfma_scale_f32_16x16x128_f8f6f4 a[40:43], v[108:111], v[40:43], a[40:43], v158, v154 op_sel_hi:[0,0,0] cbsz:4 blgp:4// 000000003ED8: D3AC6800 0003359E D3AD8C28 84A2516C
	s_add_u32 s62, 0x300, s60                                  // 000000003EE8: 803E3CFF 00000300
	s_cmp_lt_u32 s62, s61                                      // 000000003EF0: BF0A3D3E
	v_mfma_scale_f32_16x16x128_f8f6f4 a[44:47], v[108:111], v[44:47], a[44:47], v158, v154 op_sel_hi:[0,0,0] cbsz:4 blgp:4// 000000003EF4: D3AC7800 0003359E D3AD8C2C 84B2596C
	s_cselect_b32 s66, s66, 0                                  // 000000003F04: 85428042
	buffer_load_dwordx4 v[72:75], v168, s[16:19], 0 offen      // 000000003F08: E05C1000 800448A8
	v_mfma_scale_f32_16x16x128_f8f6f4 a[32:35], v[112:115], v[48:51], a[32:35], v158, v154 op_sel_hi:[0,0,0] cbsz:4 blgp:4// 000000003F10: D3AC6000 1803359E D3AD8C20 84826170
	s_cselect_b32 s68, s68, 0                                  // 000000003F20: 85448044
	s_add_u32 s12, s12, s66                                    // 000000003F24: 800C420C
	v_mfma_scale_f32_16x16x128_f8f6f4 a[36:39], v[112:115], v[52:55], a[36:39], v158, v154 op_sel_hi:[0,0,0] cbsz:4 blgp:4// 000000003F28: D3AC7000 1803359E D3AD8C24 84926970
	s_addc_u32 s13, 0, s13                                     // 000000003F38: 820D0D80
	buffer_load_dwordx4 v[76:79], v169, s[16:19], 0 offen      // 000000003F3C: E05C1000 80044CA9
	v_mfma_scale_f32_16x16x128_f8f6f4 a[40:43], v[116:119], v[48:51], a[40:43], v158, v154 op_sel_hi:[0,0,0] cbsz:4 blgp:4// 000000003F44: D3AC6800 1803359E D3AD8C28 84A26174
	s_sub_u32 s14, s14, s66                                    // 000000003F54: 808E420E
	s_add_u32 s20, s20, s68                                    // 000000003F58: 80144414
	v_mfma_scale_f32_16x16x128_f8f6f4 a[44:47], v[116:119], v[52:55], a[44:47], v158, v154 op_sel_hi:[0,0,0] cbsz:4 blgp:4// 000000003F5C: D3AC7800 1803359E D3AD8C2C 84B26974
	s_addc_u32 s21, 0, s21                                     // 000000003F6C: 82151580
	buffer_load_dwordx4 v[80:83], v168, s[16:19], 0 offen offset:1024// 000000003F70: E05C1400 800450A8
	s_sub_u32 s22, s22, s68                                    // 000000003F78: 80964416
	buffer_load_dwordx4 v[84:87], v169, s[16:19], 0 offen offset:1024// 000000003F7C: E05C1400 800454A9
	buffer_load_dword v156, v178, s[24:27], 0 offen            // 000000003F84: E0501000 80069CB2
	s_waitcnt vmcnt(12)                                        // 000000003F8C: BF8C0F7C
	v_mfma_scale_f32_16x16x128_f8f6f4 a[48:51], v[120:123], v[40:43], a[48:51], v159, v154 op_sel_hi:[0,0,0] cbsz:4 blgp:4// 000000003F90: D3AC6000 0003359F D3AD8C30 84C25178
	v_mfma_scale_f32_16x16x128_f8f6f4 a[52:55], v[120:123], v[44:47], a[52:55], v159, v154 op_sel_hi:[0,0,0] cbsz:4 blgp:4// 000000003FA0: D3AC7000 0003359F D3AD8C34 84D25978
	buffer_load_dwordx4 v[88:91], v170, s[16:19], 0 offen      // 000000003FB0: E05C1000 800458AA
	v_mfma_scale_f32_16x16x128_f8f6f4 a[56:59], v[124:127], v[40:43], a[56:59], v159, v154 op_sel_hi:[0,0,0] cbsz:4 blgp:4// 000000003FB8: D3AC6800 0003359F D3AD8C38 84E2517C
	v_mfma_scale_f32_16x16x128_f8f6f4 a[60:63], v[124:127], v[44:47], a[60:63], v159, v154 op_sel_hi:[0,0,0] cbsz:4 blgp:4// 000000003FC8: D3AC7800 0003359F D3AD8C3C 84F2597C
	buffer_load_dwordx4 v[92:95], v171, s[16:19], 0 offen      // 000000003FD8: E05C1000 80045CAB
	v_mfma_scale_f32_16x16x128_f8f6f4 a[48:51], v[128:131], v[48:51], a[48:51], v159, v154 op_sel_hi:[0,0,0] cbsz:4 blgp:4// 000000003FE0: D3AC6000 1803359F D3AD8C30 84C26180
	v_mfma_scale_f32_16x16x128_f8f6f4 a[52:55], v[128:131], v[52:55], a[52:55], v159, v154 op_sel_hi:[0,0,0] cbsz:4 blgp:4// 000000003FF0: D3AC7000 1803359F D3AD8C34 84D26980
	buffer_load_dwordx4 v[96:99], v170, s[16:19], 0 offen offset:1024// 000000004000: E05C1400 800460AA
	v_mfma_scale_f32_16x16x128_f8f6f4 a[56:59], v[132:135], v[48:51], a[56:59], v159, v154 op_sel_hi:[0,0,0] cbsz:4 blgp:4// 000000004008: D3AC6800 1803359F D3AD8C38 84E26184
	v_mfma_scale_f32_16x16x128_f8f6f4 a[60:63], v[132:135], v[52:55], a[60:63], v159, v154 op_sel_hi:[0,0,0] cbsz:4 blgp:4// 000000004018: D3AC7800 1803359F D3AD8C3C 84F26984
	buffer_load_dwordx4 v[100:103], v171, s[16:19], 0 offen offset:1024// 000000004028: E05C1400 800464AB
	buffer_load_dword v157, v179, s[24:27], 0 offen            // 000000004030: E0501000 80069DB3
	s_waitcnt vmcnt(10)                                        // 000000004038: BF8C0F7A
	s_barrier                                                  // 00000000403C: BF8A0000
	v_mfma_scale_f32_16x16x128_f8f6f4 a[64:67], v[136:139], v[40:43], a[64:67], v160, v154 op_sel_hi:[0,0,0] cbsz:4 blgp:4// 000000004040: D3AC6000 000335A0 D3AD8C40 85025188
	s_addk_i32 s60, 0x100                                      // 000000004050: B73C0100
	ds_read_b128 v[8:11], v162                                 // 000000004054: D9FE0000 080000A2
	v_mfma_scale_f32_16x16x128_f8f6f4 a[68:71], v[136:139], v[44:47], a[68:71], v160, v154 op_sel_hi:[0,0,0] cbsz:4 blgp:4// 00000000405C: D3AC7000 000335A0 D3AD8C44 85125988
	s_cmp_lt_i32 s60, s61                                      // 00000000406C: BF043D3C
	buffer_load_dwordx4 v[104:107], v172, s[16:19], 0 offen    // 000000004070: E05C1000 800468AC
	v_mfma_scale_f32_16x16x128_f8f6f4 a[72:75], v[140:143], v[40:43], a[72:75], v160, v154 op_sel_hi:[0,0,0] cbsz:4 blgp:4// 000000004078: D3AC6800 000335A0 D3AD8C48 8522518C
	ds_read_b128 v[16:19], v162 offset:64                      // 000000004088: D9FE0040 100000A2
	v_mfma_scale_f32_16x16x128_f8f6f4 a[76:79], v[140:143], v[44:47], a[76:79], v160, v154 op_sel_hi:[0,0,0] cbsz:4 blgp:4// 000000004090: D3AC7800 000335A0 D3AD8C4C 8532598C
	buffer_load_dwordx4 v[108:111], v173, s[16:19], 0 offen    // 0000000040A0: E05C1000 80046CAD
	v_mfma_scale_f32_16x16x128_f8f6f4 a[64:67], v[144:147], v[48:51], a[64:67], v160, v154 op_sel_hi:[0,0,0] cbsz:4 blgp:4// 0000000040A8: D3AC6000 180335A0 D3AD8C40 85026190
	ds_read_b128 v[12:15], v162 offset:512                     // 0000000040B8: D9FE0200 0C0000A2
	v_mfma_scale_f32_16x16x128_f8f6f4 a[68:71], v[144:147], v[52:55], a[68:71], v160, v154 op_sel_hi:[0,0,0] cbsz:4 blgp:4// 0000000040C0: D3AC7000 180335A0 D3AD8C44 85126990
	buffer_load_dwordx4 v[112:115], v172, s[16:19], 0 offen offset:1024// 0000000040D0: E05C1400 800470AC
	v_mfma_scale_f32_16x16x128_f8f6f4 a[72:75], v[148:151], v[48:51], a[72:75], v160, v154 op_sel_hi:[0,0,0] cbsz:4 blgp:4// 0000000040D8: D3AC6800 180335A0 D3AD8C48 85226194
	ds_read_b128 v[20:23], v162 offset:576                     // 0000000040E8: D9FE0240 140000A2
	v_mfma_scale_f32_16x16x128_f8f6f4 a[76:79], v[148:151], v[52:55], a[76:79], v160, v154 op_sel_hi:[0,0,0] cbsz:4 blgp:4// 0000000040F0: D3AC7800 180335A0 D3AD8C4C 85326994
	buffer_load_dwordx4 v[116:119], v173, s[16:19], 0 offen offset:1024// 000000004100: E05C1400 800474AD
	ds_read_b32 v152, v167                                     // 000000004108: D86C0000 980000A7
	buffer_load_dword v158, v180, s[24:27], 0 offen            // 000000004110: E0501000 80069EB4
	s_cbranch_scc0 label_0A56                                  // 000000004118: BF84050F
	s_waitcnt vmcnt(10) lgkmcnt(5)                             // 00000000411C: BF8C057A
	v_mfma_scale_f32_16x16x128_f8f6f4 a[0:3], v[72:75], v[56:59], a[0:3], v156, v155 op_sel_hi:[0,0,0] cbsz:4 blgp:4// 000000004120: D3AC6000 0003379C D3AD8C00 84027148
	v_mfma_scale_f32_16x16x128_f8f6f4 a[4:7], v[72:75], v[60:63], a[4:7], v156, v155 op_sel_hi:[0,0,0] cbsz:4 blgp:4// 000000004130: D3AC7000 0003379C D3AD8C04 84127948
	buffer_load_dwordx4 v[120:123], v174, s[16:19], 0 offen    // 000000004140: E05C1000 800478AE
	v_mfma_scale_f32_16x16x128_f8f6f4 a[8:11], v[76:79], v[56:59], a[8:11], v156, v155 op_sel_hi:[0,0,0] cbsz:4 blgp:4// 000000004148: D3AC6800 0003379C D3AD8C08 8422714C
	v_mfma_scale_f32_16x16x128_f8f6f4 a[12:15], v[76:79], v[60:63], a[12:15], v156, v155 op_sel_hi:[0,0,0] cbsz:4 blgp:4// 000000004158: D3AC7800 0003379C D3AD8C0C 8432794C
	buffer_load_dwordx4 v[124:127], v175, s[16:19], 0 offen    // 000000004168: E05C1000 80047CAF
	v_mfma_scale_f32_16x16x128_f8f6f4 a[0:3], v[80:83], v[64:67], a[0:3], v156, v155 op_sel_hi:[0,0,0] cbsz:4 blgp:4// 000000004170: D3AC6000 1803379C D3AD8C00 84028150
	v_mfma_scale_f32_16x16x128_f8f6f4 a[4:7], v[80:83], v[68:71], a[4:7], v156, v155 op_sel_hi:[0,0,0] cbsz:4 blgp:4// 000000004180: D3AC7000 1803379C D3AD8C04 84128950
	buffer_load_dwordx4 v[128:131], v174, s[16:19], 0 offen offset:1024// 000000004190: E05C1400 800480AE
	v_mfma_scale_f32_16x16x128_f8f6f4 a[8:11], v[84:87], v[64:67], a[8:11], v156, v155 op_sel_hi:[0,0,0] cbsz:4 blgp:4// 000000004198: D3AC6800 1803379C D3AD8C08 84228154
	v_mfma_scale_f32_16x16x128_f8f6f4 a[12:15], v[84:87], v[68:71], a[12:15], v156, v155 op_sel_hi:[0,0,0] cbsz:4 blgp:4// 0000000041A8: D3AC7800 1803379C D3AD8C0C 84328954
	buffer_load_dwordx4 v[132:135], v175, s[16:19], 0 offen offset:1024// 0000000041B8: E05C1400 800484AF
	buffer_load_dword v159, v181, s[24:27], 0 offen            // 0000000041C0: E0501000 80069FB5
	s_waitcnt vmcnt(10)                                        // 0000000041C8: BF8C0F7A
	v_mfma_scale_f32_16x16x128_f8f6f4 a[16:19], v[88:91], v[56:59], a[16:19], v157, v155 op_sel_hi:[0,0,0] cbsz:4 blgp:4// 0000000041CC: D3AC6000 0003379D D3AD8C10 84427158
	s_add_u32 s63, 0x100, s60                                  // 0000000041DC: 803F3CFF 00000100
	s_cmp_lt_u32 s63, s61                                      // 0000000041E4: BF0A3D3F
	v_mfma_scale_f32_16x16x128_f8f6f4 a[20:23], v[88:91], v[60:63], a[20:23], v157, v155 op_sel_hi:[0,0,0] cbsz:4 blgp:4// 0000000041E8: D3AC7000 0003379D D3AD8C14 84527958
	s_cselect_b32 s67, s67, 0                                  // 0000000041F8: 85438043
	buffer_load_dwordx4 v[136:139], v176, s[16:19], 0 offen    // 0000000041FC: E05C1000 800488B0
	v_mfma_scale_f32_16x16x128_f8f6f4 a[24:27], v[92:95], v[56:59], a[24:27], v157, v155 op_sel_hi:[0,0,0] cbsz:4 blgp:4// 000000004204: D3AC6800 0003379D D3AD8C18 8462715C
	s_cselect_b32 s69, s69, 0                                  // 000000004214: 85458045
	v_mfma_scale_f32_16x16x128_f8f6f4 a[28:31], v[92:95], v[60:63], a[28:31], v157, v155 op_sel_hi:[0,0,0] cbsz:4 blgp:4// 000000004218: D3AC7800 0003379D D3AD8C1C 8472795C
	buffer_load_dwordx4 v[140:143], v177, s[16:19], 0 offen    // 000000004228: E05C1000 80048CB1
	v_mfma_scale_f32_16x16x128_f8f6f4 a[16:19], v[96:99], v[64:67], a[16:19], v157, v155 op_sel_hi:[0,0,0] cbsz:4 blgp:4// 000000004230: D3AC6000 1803379D D3AD8C10 84428160
	v_mfma_scale_f32_16x16x128_f8f6f4 a[20:23], v[96:99], v[68:71], a[20:23], v157, v155 op_sel_hi:[0,0,0] cbsz:4 blgp:4// 000000004240: D3AC7000 1803379D D3AD8C14 84528960
	buffer_load_dwordx4 v[144:147], v176, s[16:19], 0 offen offset:1024// 000000004250: E05C1400 800490B0
	v_mfma_scale_f32_16x16x128_f8f6f4 a[24:27], v[100:103], v[64:67], a[24:27], v157, v155 op_sel_hi:[0,0,0] cbsz:4 blgp:4// 000000004258: D3AC6800 1803379D D3AD8C18 84628164
	v_mfma_scale_f32_16x16x128_f8f6f4 a[28:31], v[100:103], v[68:71], a[28:31], v157, v155 op_sel_hi:[0,0,0] cbsz:4 blgp:4// 000000004268: D3AC7800 1803379D D3AD8C1C 84728964
	buffer_load_dwordx4 v[148:151], v177, s[16:19], 0 offen offset:1024// 000000004278: E05C1400 800494B1
	buffer_load_dword v160, v182, s[24:27], 0 offen            // 000000004280: E0501000 8006A0B6
	s_add_u32 s16, s16, s67                                    // 000000004288: 80104310
	s_addc_u32 s17, 0, s17                                     // 00000000428C: 82111180
	s_sub_u32 s18, s18, s67                                    // 000000004290: 80924312
	s_add_u32 s24, s24, s69                                    // 000000004294: 80184518
	s_addc_u32 s25, 0, s25                                     // 000000004298: 82191980
	s_sub_u32 s26, s26, s69                                    // 00000000429C: 809A451A
	s_add_u32 m0, 0x400, s65                                   // 0000000042A0: 807C41FF 00000400
	buffer_load_dword v166, s[20:23], 0 offen lds              // 0000000042A8: E0511000 800500A6
	s_waitcnt vmcnt(11)                                        // 0000000042B0: BF8C0F7B
	v_mfma_scale_f32_16x16x128_f8f6f4 a[32:35], v[104:107], v[56:59], a[32:35], v158, v155 op_sel_hi:[0,0,0] cbsz:4 blgp:4// 0000000042B4: D3AC6000 0003379E D3AD8C20 84827168
	v_mfma_scale_f32_16x16x128_f8f6f4 a[36:39], v[104:107], v[60:63], a[36:39], v158, v155 op_sel_hi:[0,0,0] cbsz:4 blgp:4// 0000000042C4: D3AC7000 0003379E D3AD8C24 84927968
	s_add_u32 m0, 0x1080, s64                                  // 0000000042D4: 807C40FF 00001080
	buffer_load_dwordx4 v161, s[12:15], 0 offen lds            // 0000000042DC: E05D1000 800300A1
	v_mfma_scale_f32_16x16x128_f8f6f4 a[40:43], v[108:111], v[56:59], a[40:43], v158, v155 op_sel_hi:[0,0,0] cbsz:4 blgp:4// 0000000042E4: D3AC6800 0003379E D3AD8C28 84A2716C
	s_add_u32 s62, 0x300, s60                                  // 0000000042F4: 803E3CFF 00000300
	s_cmp_lt_u32 s62, s61                                      // 0000000042FC: BF0A3D3E
	v_mfma_scale_f32_16x16x128_f8f6f4 a[44:47], v[108:111], v[60:63], a[44:47], v158, v155 op_sel_hi:[0,0,0] cbsz:4 blgp:4// 000000004300: D3AC7800 0003379E D3AD8C2C 84B2796C
	s_cselect_b32 s66, s66, 0                                  // 000000004310: 85428042
	buffer_load_dwordx4 v[72:75], v168, s[16:19], 0 offen      // 000000004314: E05C1000 800448A8
	v_mfma_scale_f32_16x16x128_f8f6f4 a[32:35], v[112:115], v[64:67], a[32:35], v158, v155 op_sel_hi:[0,0,0] cbsz:4 blgp:4// 00000000431C: D3AC6000 1803379E D3AD8C20 84828170
	s_cselect_b32 s68, s68, 0                                  // 00000000432C: 85448044
	s_add_u32 s12, s12, s66                                    // 000000004330: 800C420C
	v_mfma_scale_f32_16x16x128_f8f6f4 a[36:39], v[112:115], v[68:71], a[36:39], v158, v155 op_sel_hi:[0,0,0] cbsz:4 blgp:4// 000000004334: D3AC7000 1803379E D3AD8C24 84928970
	s_addc_u32 s13, 0, s13                                     // 000000004344: 820D0D80
	buffer_load_dwordx4 v[76:79], v169, s[16:19], 0 offen      // 000000004348: E05C1000 80044CA9
	v_mfma_scale_f32_16x16x128_f8f6f4 a[40:43], v[116:119], v[64:67], a[40:43], v158, v155 op_sel_hi:[0,0,0] cbsz:4 blgp:4// 000000004350: D3AC6800 1803379E D3AD8C28 84A28174
	s_sub_u32 s14, s14, s66                                    // 000000004360: 808E420E
	s_add_u32 s20, s20, s68                                    // 000000004364: 80144414
	v_mfma_scale_f32_16x16x128_f8f6f4 a[44:47], v[116:119], v[68:71], a[44:47], v158, v155 op_sel_hi:[0,0,0] cbsz:4 blgp:4// 000000004368: D3AC7800 1803379E D3AD8C2C 84B28974
	s_addc_u32 s21, 0, s21                                     // 000000004378: 82151580
	buffer_load_dwordx4 v[80:83], v168, s[16:19], 0 offen offset:1024// 00000000437C: E05C1400 800450A8
	s_sub_u32 s22, s22, s68                                    // 000000004384: 80964416
	buffer_load_dwordx4 v[84:87], v169, s[16:19], 0 offen offset:1024// 000000004388: E05C1400 800454A9
	buffer_load_dword v156, v178, s[24:27], 0 offen            // 000000004390: E0501000 80069CB2
	s_waitcnt vmcnt(12)                                        // 000000004398: BF8C0F7C
	v_mfma_scale_f32_16x16x128_f8f6f4 a[48:51], v[120:123], v[56:59], a[48:51], v159, v155 op_sel_hi:[0,0,0] cbsz:4 blgp:4// 00000000439C: D3AC6000 0003379F D3AD8C30 84C27178
	v_mfma_scale_f32_16x16x128_f8f6f4 a[52:55], v[120:123], v[60:63], a[52:55], v159, v155 op_sel_hi:[0,0,0] cbsz:4 blgp:4// 0000000043AC: D3AC7000 0003379F D3AD8C34 84D27978
	buffer_load_dwordx4 v[88:91], v170, s[16:19], 0 offen      // 0000000043BC: E05C1000 800458AA
	v_mfma_scale_f32_16x16x128_f8f6f4 a[56:59], v[124:127], v[56:59], a[56:59], v159, v155 op_sel_hi:[0,0,0] cbsz:4 blgp:4// 0000000043C4: D3AC6800 0003379F D3AD8C38 84E2717C
	v_mfma_scale_f32_16x16x128_f8f6f4 a[60:63], v[124:127], v[60:63], a[60:63], v159, v155 op_sel_hi:[0,0,0] cbsz:4 blgp:4// 0000000043D4: D3AC7800 0003379F D3AD8C3C 84F2797C
	buffer_load_dwordx4 v[92:95], v171, s[16:19], 0 offen      // 0000000043E4: E05C1000 80045CAB
	v_mfma_scale_f32_16x16x128_f8f6f4 a[48:51], v[128:131], v[64:67], a[48:51], v159, v155 op_sel_hi:[0,0,0] cbsz:4 blgp:4// 0000000043EC: D3AC6000 1803379F D3AD8C30 84C28180
	v_mfma_scale_f32_16x16x128_f8f6f4 a[52:55], v[128:131], v[68:71], a[52:55], v159, v155 op_sel_hi:[0,0,0] cbsz:4 blgp:4// 0000000043FC: D3AC7000 1803379F D3AD8C34 84D28980
	buffer_load_dwordx4 v[96:99], v170, s[16:19], 0 offen offset:1024// 00000000440C: E05C1400 800460AA
	v_mfma_scale_f32_16x16x128_f8f6f4 a[56:59], v[132:135], v[64:67], a[56:59], v159, v155 op_sel_hi:[0,0,0] cbsz:4 blgp:4// 000000004414: D3AC6800 1803379F D3AD8C38 84E28184
	v_mfma_scale_f32_16x16x128_f8f6f4 a[60:63], v[132:135], v[68:71], a[60:63], v159, v155 op_sel_hi:[0,0,0] cbsz:4 blgp:4// 000000004424: D3AC7800 1803379F D3AD8C3C 84F28984
	buffer_load_dwordx4 v[100:103], v171, s[16:19], 0 offen offset:1024// 000000004434: E05C1400 800464AB
	buffer_load_dword v157, v179, s[24:27], 0 offen            // 00000000443C: E0501000 80069DB3
	s_waitcnt vmcnt(10)                                        // 000000004444: BF8C0F7A
	s_barrier                                                  // 000000004448: BF8A0000
	v_mfma_scale_f32_16x16x128_f8f6f4 a[64:67], v[136:139], v[56:59], a[64:67], v160, v155 op_sel_hi:[0,0,0] cbsz:4 blgp:4// 00000000444C: D3AC6000 000337A0 D3AD8C40 85027188
	s_addk_i32 s60, 0x100                                      // 00000000445C: B73C0100
	ds_read_b128 v[24:27], v163                                // 000000004460: D9FE0000 180000A3
	v_mfma_scale_f32_16x16x128_f8f6f4 a[68:71], v[136:139], v[60:63], a[68:71], v160, v155 op_sel_hi:[0,0,0] cbsz:4 blgp:4// 000000004468: D3AC7000 000337A0 D3AD8C44 85127988
	s_cmp_lt_i32 s60, s61                                      // 000000004478: BF043D3C
	buffer_load_dwordx4 v[104:107], v172, s[16:19], 0 offen    // 00000000447C: E05C1000 800468AC
	v_mfma_scale_f32_16x16x128_f8f6f4 a[72:75], v[140:143], v[56:59], a[72:75], v160, v155 op_sel_hi:[0,0,0] cbsz:4 blgp:4// 000000004484: D3AC6800 000337A0 D3AD8C48 8522718C
	ds_read_b128 v[32:35], v163 offset:64                      // 000000004494: D9FE0040 200000A3
	v_mfma_scale_f32_16x16x128_f8f6f4 a[76:79], v[140:143], v[60:63], a[76:79], v160, v155 op_sel_hi:[0,0,0] cbsz:4 blgp:4// 00000000449C: D3AC7800 000337A0 D3AD8C4C 8532798C
	buffer_load_dwordx4 v[108:111], v173, s[16:19], 0 offen    // 0000000044AC: E05C1000 80046CAD
	v_mfma_scale_f32_16x16x128_f8f6f4 a[64:67], v[144:147], v[64:67], a[64:67], v160, v155 op_sel_hi:[0,0,0] cbsz:4 blgp:4// 0000000044B4: D3AC6000 180337A0 D3AD8C40 85028190
	ds_read_b128 v[28:31], v163 offset:512                     // 0000000044C4: D9FE0200 1C0000A3
	v_mfma_scale_f32_16x16x128_f8f6f4 a[68:71], v[144:147], v[68:71], a[68:71], v160, v155 op_sel_hi:[0,0,0] cbsz:4 blgp:4// 0000000044CC: D3AC7000 180337A0 D3AD8C44 85128990
	buffer_load_dwordx4 v[112:115], v172, s[16:19], 0 offen offset:1024// 0000000044DC: E05C1400 800470AC
	v_mfma_scale_f32_16x16x128_f8f6f4 a[72:75], v[148:151], v[64:67], a[72:75], v160, v155 op_sel_hi:[0,0,0] cbsz:4 blgp:4// 0000000044E4: D3AC6800 180337A0 D3AD8C48 85228194
	ds_read_b128 v[36:39], v163 offset:576                     // 0000000044F4: D9FE0240 240000A3
	v_mfma_scale_f32_16x16x128_f8f6f4 a[76:79], v[148:151], v[68:71], a[76:79], v160, v155 op_sel_hi:[0,0,0] cbsz:4 blgp:4// 0000000044FC: D3AC7800 180337A0 D3AD8C4C 85328994
	buffer_load_dwordx4 v[116:119], v173, s[16:19], 0 offen offset:1024// 00000000450C: E05C1400 800474AD
	ds_read_b32 v153, v167 offset:1024                         // 000000004514: D86C0400 990000A7
	buffer_load_dword v158, v180, s[24:27], 0 offen            // 00000000451C: E0501000 80069EB4
	s_cbranch_scc0 label_0A56                                  // 000000004524: BF84040C
	s_branch label_0240                                        // 000000004528: BF82FBF5

000000000000452c <label_064B>:
	s_waitcnt vmcnt(10) lgkmcnt(5)                             // 00000000452C: BF8C057A
	v_mfma_scale_f32_16x16x128_f8f6f4 a[0:3], v[72:75], v[8:11], a[0:3], v156, v152 op_sel_hi:[0,0,0] cbsz:4 blgp:4// 000000004530: D3AC6000 0003319C D3AD8C00 84021148
	buffer_load_dwordx4 v[120:123], v174, s[16:19], 0 offen    // 000000004540: E05C1000 800478AE
	v_mfma_scale_f32_16x16x128_f8f6f4 a[4:7], v[72:75], v[12:15], a[4:7], v156, v152 op_sel_hi:[0,0,0] cbsz:4 blgp:4// 000000004548: D3AC7000 0003319C D3AD8C04 84121948
	v_mfma_scale_f32_16x16x128_f8f6f4 a[8:11], v[76:79], v[8:11], a[8:11], v156, v152 op_sel_hi:[0,0,0] cbsz:4 blgp:4// 000000004558: D3AC6800 0003319C D3AD8C08 8422114C
	buffer_load_dwordx4 v[124:127], v175, s[16:19], 0 offen    // 000000004568: E05C1000 80047CAF
	v_mfma_scale_f32_16x16x128_f8f6f4 a[12:15], v[76:79], v[12:15], a[12:15], v156, v152 op_sel_hi:[0,0,0] cbsz:4 blgp:4// 000000004570: D3AC7800 0003319C D3AD8C0C 8432194C
	v_mfma_scale_f32_16x16x128_f8f6f4 a[0:3], v[80:83], v[16:19], a[0:3], v156, v152 op_sel_hi:[0,0,0] cbsz:4 blgp:4// 000000004580: D3AC6000 1803319C D3AD8C00 84022150
	buffer_load_dwordx4 v[128:131], v174, s[16:19], 0 offen offset:1024// 000000004590: E05C1400 800480AE
	v_mfma_scale_f32_16x16x128_f8f6f4 a[4:7], v[80:83], v[20:23], a[4:7], v156, v152 op_sel_hi:[0,0,0] cbsz:4 blgp:4// 000000004598: D3AC7000 1803319C D3AD8C04 84122950
	v_mfma_scale_f32_16x16x128_f8f6f4 a[8:11], v[84:87], v[16:19], a[8:11], v156, v152 op_sel_hi:[0,0,0] cbsz:4 blgp:4// 0000000045A8: D3AC6800 1803319C D3AD8C08 84222154
	buffer_load_dwordx4 v[132:135], v175, s[16:19], 0 offen offset:1024// 0000000045B8: E05C1400 800484AF
	v_mfma_scale_f32_16x16x128_f8f6f4 a[12:15], v[84:87], v[20:23], a[12:15], v156, v152 op_sel_hi:[0,0,0] cbsz:4 blgp:4// 0000000045C0: D3AC7800 1803319C D3AD8C0C 84322954
	buffer_load_dword v159, v181, s[24:27], 0 offen            // 0000000045D0: E0501000 80069FB5
	s_waitcnt vmcnt(10)                                        // 0000000045D8: BF8C0F7A
	v_mfma_scale_f32_16x16x128_f8f6f4 a[16:19], v[88:91], v[8:11], a[16:19], v157, v152 op_sel_hi:[0,0,0] cbsz:4 blgp:4// 0000000045DC: D3AC6000 0003319D D3AD8C10 84421158
	s_add_u32 s63, 0x100, s60                                  // 0000000045EC: 803F3CFF 00000100
	buffer_load_dwordx4 v[136:139], v176, s[16:19], 0 offen    // 0000000045F4: E05C1000 800488B0
	v_mfma_scale_f32_16x16x128_f8f6f4 a[20:23], v[88:91], v[12:15], a[20:23], v157, v152 op_sel_hi:[0,0,0] cbsz:4 blgp:4// 0000000045FC: D3AC7000 0003319D D3AD8C14 84521958
	s_cmp_lt_u32 s63, s61                                      // 00000000460C: BF0A3D3F
	s_cselect_b32 s67, s67, 0                                  // 000000004610: 85438043
	v_mfma_scale_f32_16x16x128_f8f6f4 a[24:27], v[92:95], v[8:11], a[24:27], v157, v152 op_sel_hi:[0,0,0] cbsz:4 blgp:4// 000000004614: D3AC6800 0003319D D3AD8C18 8462115C
	s_cselect_b32 s69, s69, 0                                  // 000000004624: 85458045
	buffer_load_dwordx4 v[140:143], v177, s[16:19], 0 offen    // 000000004628: E05C1000 80048CB1
	v_mfma_scale_f32_16x16x128_f8f6f4 a[28:31], v[92:95], v[12:15], a[28:31], v157, v152 op_sel_hi:[0,0,0] cbsz:4 blgp:4// 000000004630: D3AC7800 0003319D D3AD8C1C 8472195C
	v_mfma_scale_f32_16x16x128_f8f6f4 a[16:19], v[96:99], v[16:19], a[16:19], v157, v152 op_sel_hi:[0,0,0] cbsz:4 blgp:4// 000000004640: D3AC6000 1803319D D3AD8C10 84422160
	buffer_load_dwordx4 v[144:147], v176, s[16:19], 0 offen offset:1024// 000000004650: E05C1400 800490B0
	v_mfma_scale_f32_16x16x128_f8f6f4 a[20:23], v[96:99], v[20:23], a[20:23], v157, v152 op_sel_hi:[0,0,0] cbsz:4 blgp:4// 000000004658: D3AC7000 1803319D D3AD8C14 84522960
	v_mfma_scale_f32_16x16x128_f8f6f4 a[24:27], v[100:103], v[16:19], a[24:27], v157, v152 op_sel_hi:[0,0,0] cbsz:4 blgp:4// 000000004668: D3AC6800 1803319D D3AD8C18 84622164
	buffer_load_dwordx4 v[148:151], v177, s[16:19], 0 offen offset:1024// 000000004678: E05C1400 800494B1
	v_mfma_scale_f32_16x16x128_f8f6f4 a[28:31], v[100:103], v[20:23], a[28:31], v157, v152 op_sel_hi:[0,0,0] cbsz:4 blgp:4// 000000004680: D3AC7800 1803319D D3AD8C1C 84722964
	buffer_load_dword v160, v182, s[24:27], 0 offen            // 000000004690: E0501000 8006A0B6
	s_add_u32 s16, s16, s67                                    // 000000004698: 80104310
	s_addc_u32 s17, 0, s17                                     // 00000000469C: 82111180
	s_sub_u32 s18, s18, s67                                    // 0000000046A0: 80924312
	s_add_u32 s24, s24, s69                                    // 0000000046A4: 80184518
	s_addc_u32 s25, 0, s25                                     // 0000000046A8: 82191980
	s_sub_u32 s26, s26, s69                                    // 0000000046AC: 809A451A
	s_add_u32 m0, 0x800, s65                                   // 0000000046B0: 807C41FF 00000800
	buffer_load_dword v166, s[20:23], 0 offen lds              // 0000000046B8: E0511000 800500A6
	s_waitcnt vmcnt(11)                                        // 0000000046C0: BF8C0F7B
	v_mfma_scale_f32_16x16x128_f8f6f4 a[32:35], v[104:107], v[8:11], a[32:35], v158, v152 op_sel_hi:[0,0,0] cbsz:4 blgp:4// 0000000046C4: D3AC6000 0003319E D3AD8C20 84821168
	s_add_u32 m0, 0x2100, s64                                  // 0000000046D4: 807C40FF 00002100
	buffer_load_dwordx4 v161, s[12:15], 0 offen lds            // 0000000046DC: E05D1000 800300A1
	v_mfma_scale_f32_16x16x128_f8f6f4 a[36:39], v[104:107], v[12:15], a[36:39], v158, v152 op_sel_hi:[0,0,0] cbsz:4 blgp:4// 0000000046E4: D3AC7000 0003319E D3AD8C24 84921968
	s_add_u32 s62, 0x300, s60                                  // 0000000046F4: 803E3CFF 00000300
	s_cmp_lt_u32 s62, s61                                      // 0000000046FC: BF0A3D3E
	v_mfma_scale_f32_16x16x128_f8f6f4 a[40:43], v[108:111], v[8:11], a[40:43], v158, v152 op_sel_hi:[0,0,0] cbsz:4 blgp:4// 000000004700: D3AC6800 0003319E D3AD8C28 84A2116C
	s_cselect_b32 s66, s66, 0                                  // 000000004710: 85428042
	buffer_load_dwordx4 v[72:75], v168, s[16:19], 0 offen      // 000000004714: E05C1000 800448A8
	v_mfma_scale_f32_16x16x128_f8f6f4 a[44:47], v[108:111], v[12:15], a[44:47], v158, v152 op_sel_hi:[0,0,0] cbsz:4 blgp:4// 00000000471C: D3AC7800 0003319E D3AD8C2C 84B2196C
	s_cselect_b32 s68, s68, 0                                  // 00000000472C: 85448044
	s_add_u32 s12, s12, s66                                    // 000000004730: 800C420C
	v_mfma_scale_f32_16x16x128_f8f6f4 a[32:35], v[112:115], v[16:19], a[32:35], v158, v152 op_sel_hi:[0,0,0] cbsz:4 blgp:4// 000000004734: D3AC6000 1803319E D3AD8C20 84822170
	s_addc_u32 s13, 0, s13                                     // 000000004744: 820D0D80
	buffer_load_dwordx4 v[76:79], v169, s[16:19], 0 offen      // 000000004748: E05C1000 80044CA9
	v_mfma_scale_f32_16x16x128_f8f6f4 a[36:39], v[112:115], v[20:23], a[36:39], v158, v152 op_sel_hi:[0,0,0] cbsz:4 blgp:4// 000000004750: D3AC7000 1803319E D3AD8C24 84922970
	s_sub_u32 s14, s14, s66                                    // 000000004760: 808E420E
	s_add_u32 s20, s20, s68                                    // 000000004764: 80144414
	v_mfma_scale_f32_16x16x128_f8f6f4 a[40:43], v[116:119], v[16:19], a[40:43], v158, v152 op_sel_hi:[0,0,0] cbsz:4 blgp:4// 000000004768: D3AC6800 1803319E D3AD8C28 84A22174
	s_addc_u32 s21, 0, s21                                     // 000000004778: 82151580
	buffer_load_dwordx4 v[80:83], v168, s[16:19], 0 offen offset:1024// 00000000477C: E05C1400 800450A8
	v_mfma_scale_f32_16x16x128_f8f6f4 a[44:47], v[116:119], v[20:23], a[44:47], v158, v152 op_sel_hi:[0,0,0] cbsz:4 blgp:4// 000000004784: D3AC7800 1803319E D3AD8C2C 84B22974
	s_sub_u32 s22, s22, s68                                    // 000000004794: 80964416
	buffer_load_dwordx4 v[84:87], v169, s[16:19], 0 offen offset:1024// 000000004798: E05C1400 800454A9
	buffer_load_dword v156, v178, s[24:27], 0 offen            // 0000000047A0: E0501000 80069CB2
	s_waitcnt vmcnt(12)                                        // 0000000047A8: BF8C0F7C
	v_mfma_scale_f32_16x16x128_f8f6f4 a[48:51], v[120:123], v[8:11], a[48:51], v159, v152 op_sel_hi:[0,0,0] cbsz:4 blgp:4// 0000000047AC: D3AC6000 0003319F D3AD8C30 84C21178
	buffer_load_dwordx4 v[88:91], v170, s[16:19], 0 offen      // 0000000047BC: E05C1000 800458AA
	v_mfma_scale_f32_16x16x128_f8f6f4 a[52:55], v[120:123], v[12:15], a[52:55], v159, v152 op_sel_hi:[0,0,0] cbsz:4 blgp:4// 0000000047C4: D3AC7000 0003319F D3AD8C34 84D21978
	v_mfma_scale_f32_16x16x128_f8f6f4 a[56:59], v[124:127], v[8:11], a[56:59], v159, v152 op_sel_hi:[0,0,0] cbsz:4 blgp:4// 0000000047D4: D3AC6800 0003319F D3AD8C38 84E2117C
	buffer_load_dwordx4 v[92:95], v171, s[16:19], 0 offen      // 0000000047E4: E05C1000 80045CAB
	v_mfma_scale_f32_16x16x128_f8f6f4 a[60:63], v[124:127], v[12:15], a[60:63], v159, v152 op_sel_hi:[0,0,0] cbsz:4 blgp:4// 0000000047EC: D3AC7800 0003319F D3AD8C3C 84F2197C
	v_mfma_scale_f32_16x16x128_f8f6f4 a[48:51], v[128:131], v[16:19], a[48:51], v159, v152 op_sel_hi:[0,0,0] cbsz:4 blgp:4// 0000000047FC: D3AC6000 1803319F D3AD8C30 84C22180
	buffer_load_dwordx4 v[96:99], v170, s[16:19], 0 offen offset:1024// 00000000480C: E05C1400 800460AA
	v_mfma_scale_f32_16x16x128_f8f6f4 a[52:55], v[128:131], v[20:23], a[52:55], v159, v152 op_sel_hi:[0,0,0] cbsz:4 blgp:4// 000000004814: D3AC7000 1803319F D3AD8C34 84D22980
	v_mfma_scale_f32_16x16x128_f8f6f4 a[56:59], v[132:135], v[16:19], a[56:59], v159, v152 op_sel_hi:[0,0,0] cbsz:4 blgp:4// 000000004824: D3AC6800 1803319F D3AD8C38 84E22184
	buffer_load_dwordx4 v[100:103], v171, s[16:19], 0 offen offset:1024// 000000004834: E05C1400 800464AB
	v_mfma_scale_f32_16x16x128_f8f6f4 a[60:63], v[132:135], v[20:23], a[60:63], v159, v152 op_sel_hi:[0,0,0] cbsz:4 blgp:4// 00000000483C: D3AC7800 1803319F D3AD8C3C 84F22984
	buffer_load_dword v157, v179, s[24:27], 0 offen            // 00000000484C: E0501000 80069DB3
	s_waitcnt vmcnt(10)                                        // 000000004854: BF8C0F7A
	s_barrier                                                  // 000000004858: BF8A0000
	v_mfma_scale_f32_16x16x128_f8f6f4 a[64:67], v[136:139], v[8:11], a[64:67], v160, v152 op_sel_hi:[0,0,0] cbsz:4 blgp:4// 00000000485C: D3AC6000 000331A0 D3AD8C40 85021188
	s_addk_i32 s60, 0x100                                      // 00000000486C: B73C0100
	buffer_load_dwordx4 v[104:107], v172, s[16:19], 0 offen    // 000000004870: E05C1000 800468AC
	v_mfma_scale_f32_16x16x128_f8f6f4 a[68:71], v[136:139], v[12:15], a[68:71], v160, v152 op_sel_hi:[0,0,0] cbsz:4 blgp:4// 000000004878: D3AC7000 000331A0 D3AD8C44 85121988
	s_cmp_lt_i32 s60, s61                                      // 000000004888: BF043D3C
	ds_read_b128 v[40:43], v164                                // 00000000488C: D9FE0000 280000A4
	v_mfma_scale_f32_16x16x128_f8f6f4 a[72:75], v[140:143], v[8:11], a[72:75], v160, v152 op_sel_hi:[0,0,0] cbsz:4 blgp:4// 000000004894: D3AC6800 000331A0 D3AD8C48 8522118C
	buffer_load_dwordx4 v[108:111], v173, s[16:19], 0 offen    // 0000000048A4: E05C1000 80046CAD
	v_mfma_scale_f32_16x16x128_f8f6f4 a[76:79], v[140:143], v[12:15], a[76:79], v160, v152 op_sel_hi:[0,0,0] cbsz:4 blgp:4// 0000000048AC: D3AC7800 000331A0 D3AD8C4C 8532198C
	ds_read_b128 v[48:51], v164 offset:64                      // 0000000048BC: D9FE0040 300000A4
	v_mfma_scale_f32_16x16x128_f8f6f4 a[64:67], v[144:147], v[16:19], a[64:67], v160, v152 op_sel_hi:[0,0,0] cbsz:4 blgp:4// 0000000048C4: D3AC6000 180331A0 D3AD8C40 85022190
	buffer_load_dwordx4 v[112:115], v172, s[16:19], 0 offen offset:1024// 0000000048D4: E05C1400 800470AC
	v_mfma_scale_f32_16x16x128_f8f6f4 a[68:71], v[144:147], v[20:23], a[68:71], v160, v152 op_sel_hi:[0,0,0] cbsz:4 blgp:4// 0000000048DC: D3AC7000 180331A0 D3AD8C44 85122990
	ds_read_b128 v[44:47], v164 offset:512                     // 0000000048EC: D9FE0200 2C0000A4
	v_mfma_scale_f32_16x16x128_f8f6f4 a[72:75], v[148:151], v[16:19], a[72:75], v160, v152 op_sel_hi:[0,0,0] cbsz:4 blgp:4// 0000000048F4: D3AC6800 180331A0 D3AD8C48 85222194
	buffer_load_dwordx4 v[116:119], v173, s[16:19], 0 offen offset:1024// 000000004904: E05C1400 800474AD
	v_mfma_scale_f32_16x16x128_f8f6f4 a[76:79], v[148:151], v[20:23], a[76:79], v160, v152 op_sel_hi:[0,0,0] cbsz:4 blgp:4// 00000000490C: D3AC7800 180331A0 D3AD8C4C 85322994
	ds_read_b128 v[52:55], v164 offset:576                     // 00000000491C: D9FE0240 340000A4
	ds_read_b32 v154, v167 offset:2048                         // 000000004924: D86C0800 9A0000A7
	buffer_load_dword v158, v180, s[24:27], 0 offen            // 00000000492C: E0501000 80069EB4
	s_cbranch_scc0 label_0A56                                  // 000000004934: BF840308
	s_waitcnt vmcnt(10) lgkmcnt(5)                             // 000000004938: BF8C057A
	v_mfma_scale_f32_16x16x128_f8f6f4 a[0:3], v[72:75], v[24:27], a[0:3], v156, v153 op_sel_hi:[0,0,0] cbsz:4 blgp:4// 00000000493C: D3AC6000 0003339C D3AD8C00 84023148
	buffer_load_dwordx4 v[120:123], v174, s[16:19], 0 offen    // 00000000494C: E05C1000 800478AE
	v_mfma_scale_f32_16x16x128_f8f6f4 a[4:7], v[72:75], v[28:31], a[4:7], v156, v153 op_sel_hi:[0,0,0] cbsz:4 blgp:4// 000000004954: D3AC7000 0003339C D3AD8C04 84123948
	v_mfma_scale_f32_16x16x128_f8f6f4 a[8:11], v[76:79], v[24:27], a[8:11], v156, v153 op_sel_hi:[0,0,0] cbsz:4 blgp:4// 000000004964: D3AC6800 0003339C D3AD8C08 8422314C
	buffer_load_dwordx4 v[124:127], v175, s[16:19], 0 offen    // 000000004974: E05C1000 80047CAF
	v_mfma_scale_f32_16x16x128_f8f6f4 a[12:15], v[76:79], v[28:31], a[12:15], v156, v153 op_sel_hi:[0,0,0] cbsz:4 blgp:4// 00000000497C: D3AC7800 0003339C D3AD8C0C 8432394C
	v_mfma_scale_f32_16x16x128_f8f6f4 a[0:3], v[80:83], v[32:35], a[0:3], v156, v153 op_sel_hi:[0,0,0] cbsz:4 blgp:4// 00000000498C: D3AC6000 1803339C D3AD8C00 84024150
	buffer_load_dwordx4 v[128:131], v174, s[16:19], 0 offen offset:1024// 00000000499C: E05C1400 800480AE
	v_mfma_scale_f32_16x16x128_f8f6f4 a[4:7], v[80:83], v[36:39], a[4:7], v156, v153 op_sel_hi:[0,0,0] cbsz:4 blgp:4// 0000000049A4: D3AC7000 1803339C D3AD8C04 84124950
	v_mfma_scale_f32_16x16x128_f8f6f4 a[8:11], v[84:87], v[32:35], a[8:11], v156, v153 op_sel_hi:[0,0,0] cbsz:4 blgp:4// 0000000049B4: D3AC6800 1803339C D3AD8C08 84224154
	buffer_load_dwordx4 v[132:135], v175, s[16:19], 0 offen offset:1024// 0000000049C4: E05C1400 800484AF
	v_mfma_scale_f32_16x16x128_f8f6f4 a[12:15], v[84:87], v[36:39], a[12:15], v156, v153 op_sel_hi:[0,0,0] cbsz:4 blgp:4// 0000000049CC: D3AC7800 1803339C D3AD8C0C 84324954
	buffer_load_dword v159, v181, s[24:27], 0 offen            // 0000000049DC: E0501000 80069FB5
	s_waitcnt vmcnt(10)                                        // 0000000049E4: BF8C0F7A
	v_mfma_scale_f32_16x16x128_f8f6f4 a[16:19], v[88:91], v[24:27], a[16:19], v157, v153 op_sel_hi:[0,0,0] cbsz:4 blgp:4// 0000000049E8: D3AC6000 0003339D D3AD8C10 84423158
	s_add_u32 s63, 0x100, s60                                  // 0000000049F8: 803F3CFF 00000100
	buffer_load_dwordx4 v[136:139], v176, s[16:19], 0 offen    // 000000004A00: E05C1000 800488B0
	v_mfma_scale_f32_16x16x128_f8f6f4 a[20:23], v[88:91], v[28:31], a[20:23], v157, v153 op_sel_hi:[0,0,0] cbsz:4 blgp:4// 000000004A08: D3AC7000 0003339D D3AD8C14 84523958
	s_cmp_lt_u32 s63, s61                                      // 000000004A18: BF0A3D3F
	s_cselect_b32 s67, s67, 0                                  // 000000004A1C: 85438043
	v_mfma_scale_f32_16x16x128_f8f6f4 a[24:27], v[92:95], v[24:27], a[24:27], v157, v153 op_sel_hi:[0,0,0] cbsz:4 blgp:4// 000000004A20: D3AC6800 0003339D D3AD8C18 8462315C
	s_cselect_b32 s69, s69, 0                                  // 000000004A30: 85458045
	buffer_load_dwordx4 v[140:143], v177, s[16:19], 0 offen    // 000000004A34: E05C1000 80048CB1
	v_mfma_scale_f32_16x16x128_f8f6f4 a[28:31], v[92:95], v[28:31], a[28:31], v157, v153 op_sel_hi:[0,0,0] cbsz:4 blgp:4// 000000004A3C: D3AC7800 0003339D D3AD8C1C 8472395C
	v_mfma_scale_f32_16x16x128_f8f6f4 a[16:19], v[96:99], v[32:35], a[16:19], v157, v153 op_sel_hi:[0,0,0] cbsz:4 blgp:4// 000000004A4C: D3AC6000 1803339D D3AD8C10 84424160
	buffer_load_dwordx4 v[144:147], v176, s[16:19], 0 offen offset:1024// 000000004A5C: E05C1400 800490B0
	v_mfma_scale_f32_16x16x128_f8f6f4 a[20:23], v[96:99], v[36:39], a[20:23], v157, v153 op_sel_hi:[0,0,0] cbsz:4 blgp:4// 000000004A64: D3AC7000 1803339D D3AD8C14 84524960
	v_mfma_scale_f32_16x16x128_f8f6f4 a[24:27], v[100:103], v[32:35], a[24:27], v157, v153 op_sel_hi:[0,0,0] cbsz:4 blgp:4// 000000004A74: D3AC6800 1803339D D3AD8C18 84624164
	buffer_load_dwordx4 v[148:151], v177, s[16:19], 0 offen offset:1024// 000000004A84: E05C1400 800494B1
	v_mfma_scale_f32_16x16x128_f8f6f4 a[28:31], v[100:103], v[36:39], a[28:31], v157, v153 op_sel_hi:[0,0,0] cbsz:4 blgp:4// 000000004A8C: D3AC7800 1803339D D3AD8C1C 84724964
	buffer_load_dword v160, v182, s[24:27], 0 offen            // 000000004A9C: E0501000 8006A0B6
	s_add_u32 s16, s16, s67                                    // 000000004AA4: 80104310
	s_addc_u32 s17, 0, s17                                     // 000000004AA8: 82111180
	s_sub_u32 s18, s18, s67                                    // 000000004AAC: 80924312
	s_add_u32 s24, s24, s69                                    // 000000004AB0: 80184518
	s_addc_u32 s25, 0, s25                                     // 000000004AB4: 82191980
	s_sub_u32 s26, s26, s69                                    // 000000004AB8: 809A451A
	s_add_u32 m0, 0xc00, s65                                   // 000000004ABC: 807C41FF 00000C00
	buffer_load_dword v166, s[20:23], 0 offen lds              // 000000004AC4: E0511000 800500A6
	s_waitcnt vmcnt(11)                                        // 000000004ACC: BF8C0F7B
	v_mfma_scale_f32_16x16x128_f8f6f4 a[32:35], v[104:107], v[24:27], a[32:35], v158, v153 op_sel_hi:[0,0,0] cbsz:4 blgp:4// 000000004AD0: D3AC6000 0003339E D3AD8C20 84823168
	s_add_u32 m0, 0x3180, s64                                  // 000000004AE0: 807C40FF 00003180
	buffer_load_dwordx4 v161, s[12:15], 0 offen lds            // 000000004AE8: E05D1000 800300A1
	v_mfma_scale_f32_16x16x128_f8f6f4 a[36:39], v[104:107], v[28:31], a[36:39], v158, v153 op_sel_hi:[0,0,0] cbsz:4 blgp:4// 000000004AF0: D3AC7000 0003339E D3AD8C24 84923968
	s_add_u32 s62, 0x300, s60                                  // 000000004B00: 803E3CFF 00000300
	s_cmp_lt_u32 s62, s61                                      // 000000004B08: BF0A3D3E
	v_mfma_scale_f32_16x16x128_f8f6f4 a[40:43], v[108:111], v[24:27], a[40:43], v158, v153 op_sel_hi:[0,0,0] cbsz:4 blgp:4// 000000004B0C: D3AC6800 0003339E D3AD8C28 84A2316C
	s_cselect_b32 s66, s66, 0                                  // 000000004B1C: 85428042
	buffer_load_dwordx4 v[72:75], v168, s[16:19], 0 offen      // 000000004B20: E05C1000 800448A8
	v_mfma_scale_f32_16x16x128_f8f6f4 a[44:47], v[108:111], v[28:31], a[44:47], v158, v153 op_sel_hi:[0,0,0] cbsz:4 blgp:4// 000000004B28: D3AC7800 0003339E D3AD8C2C 84B2396C
	s_cselect_b32 s68, s68, 0                                  // 000000004B38: 85448044
	s_add_u32 s12, s12, s66                                    // 000000004B3C: 800C420C
	v_mfma_scale_f32_16x16x128_f8f6f4 a[32:35], v[112:115], v[32:35], a[32:35], v158, v153 op_sel_hi:[0,0,0] cbsz:4 blgp:4// 000000004B40: D3AC6000 1803339E D3AD8C20 84824170
	s_addc_u32 s13, 0, s13                                     // 000000004B50: 820D0D80
	buffer_load_dwordx4 v[76:79], v169, s[16:19], 0 offen      // 000000004B54: E05C1000 80044CA9
	v_mfma_scale_f32_16x16x128_f8f6f4 a[36:39], v[112:115], v[36:39], a[36:39], v158, v153 op_sel_hi:[0,0,0] cbsz:4 blgp:4// 000000004B5C: D3AC7000 1803339E D3AD8C24 84924970
	s_sub_u32 s14, s14, s66                                    // 000000004B6C: 808E420E
	s_add_u32 s20, s20, s68                                    // 000000004B70: 80144414
	v_mfma_scale_f32_16x16x128_f8f6f4 a[40:43], v[116:119], v[32:35], a[40:43], v158, v153 op_sel_hi:[0,0,0] cbsz:4 blgp:4// 000000004B74: D3AC6800 1803339E D3AD8C28 84A24174
	s_addc_u32 s21, 0, s21                                     // 000000004B84: 82151580
	buffer_load_dwordx4 v[80:83], v168, s[16:19], 0 offen offset:1024// 000000004B88: E05C1400 800450A8
	v_mfma_scale_f32_16x16x128_f8f6f4 a[44:47], v[116:119], v[36:39], a[44:47], v158, v153 op_sel_hi:[0,0,0] cbsz:4 blgp:4// 000000004B90: D3AC7800 1803339E D3AD8C2C 84B24974
	s_sub_u32 s22, s22, s68                                    // 000000004BA0: 80964416
	buffer_load_dwordx4 v[84:87], v169, s[16:19], 0 offen offset:1024// 000000004BA4: E05C1400 800454A9
	buffer_load_dword v156, v178, s[24:27], 0 offen            // 000000004BAC: E0501000 80069CB2
	s_waitcnt vmcnt(12)                                        // 000000004BB4: BF8C0F7C
	v_mfma_scale_f32_16x16x128_f8f6f4 a[48:51], v[120:123], v[24:27], a[48:51], v159, v153 op_sel_hi:[0,0,0] cbsz:4 blgp:4// 000000004BB8: D3AC6000 0003339F D3AD8C30 84C23178
	buffer_load_dwordx4 v[88:91], v170, s[16:19], 0 offen      // 000000004BC8: E05C1000 800458AA
	v_mfma_scale_f32_16x16x128_f8f6f4 a[52:55], v[120:123], v[28:31], a[52:55], v159, v153 op_sel_hi:[0,0,0] cbsz:4 blgp:4// 000000004BD0: D3AC7000 0003339F D3AD8C34 84D23978
	v_mfma_scale_f32_16x16x128_f8f6f4 a[56:59], v[124:127], v[24:27], a[56:59], v159, v153 op_sel_hi:[0,0,0] cbsz:4 blgp:4// 000000004BE0: D3AC6800 0003339F D3AD8C38 84E2317C
	buffer_load_dwordx4 v[92:95], v171, s[16:19], 0 offen      // 000000004BF0: E05C1000 80045CAB
	v_mfma_scale_f32_16x16x128_f8f6f4 a[60:63], v[124:127], v[28:31], a[60:63], v159, v153 op_sel_hi:[0,0,0] cbsz:4 blgp:4// 000000004BF8: D3AC7800 0003339F D3AD8C3C 84F2397C
	v_mfma_scale_f32_16x16x128_f8f6f4 a[48:51], v[128:131], v[32:35], a[48:51], v159, v153 op_sel_hi:[0,0,0] cbsz:4 blgp:4// 000000004C08: D3AC6000 1803339F D3AD8C30 84C24180
	buffer_load_dwordx4 v[96:99], v170, s[16:19], 0 offen offset:1024// 000000004C18: E05C1400 800460AA
	v_mfma_scale_f32_16x16x128_f8f6f4 a[52:55], v[128:131], v[36:39], a[52:55], v159, v153 op_sel_hi:[0,0,0] cbsz:4 blgp:4// 000000004C20: D3AC7000 1803339F D3AD8C34 84D24980
	v_mfma_scale_f32_16x16x128_f8f6f4 a[56:59], v[132:135], v[32:35], a[56:59], v159, v153 op_sel_hi:[0,0,0] cbsz:4 blgp:4// 000000004C30: D3AC6800 1803339F D3AD8C38 84E24184
	buffer_load_dwordx4 v[100:103], v171, s[16:19], 0 offen offset:1024// 000000004C40: E05C1400 800464AB
	v_mfma_scale_f32_16x16x128_f8f6f4 a[60:63], v[132:135], v[36:39], a[60:63], v159, v153 op_sel_hi:[0,0,0] cbsz:4 blgp:4// 000000004C48: D3AC7800 1803339F D3AD8C3C 84F24984
	buffer_load_dword v157, v179, s[24:27], 0 offen            // 000000004C58: E0501000 80069DB3
	s_waitcnt vmcnt(10)                                        // 000000004C60: BF8C0F7A
	s_barrier                                                  // 000000004C64: BF8A0000
	v_mfma_scale_f32_16x16x128_f8f6f4 a[64:67], v[136:139], v[24:27], a[64:67], v160, v153 op_sel_hi:[0,0,0] cbsz:4 blgp:4// 000000004C68: D3AC6000 000333A0 D3AD8C40 85023188
	s_addk_i32 s60, 0x100                                      // 000000004C78: B73C0100
	buffer_load_dwordx4 v[104:107], v172, s[16:19], 0 offen    // 000000004C7C: E05C1000 800468AC
	v_mfma_scale_f32_16x16x128_f8f6f4 a[68:71], v[136:139], v[28:31], a[68:71], v160, v153 op_sel_hi:[0,0,0] cbsz:4 blgp:4// 000000004C84: D3AC7000 000333A0 D3AD8C44 85123988
	s_cmp_lt_i32 s60, s61                                      // 000000004C94: BF043D3C
	ds_read_b128 v[56:59], v165                                // 000000004C98: D9FE0000 380000A5
	v_mfma_scale_f32_16x16x128_f8f6f4 a[72:75], v[140:143], v[24:27], a[72:75], v160, v153 op_sel_hi:[0,0,0] cbsz:4 blgp:4// 000000004CA0: D3AC6800 000333A0 D3AD8C48 8522318C
	buffer_load_dwordx4 v[108:111], v173, s[16:19], 0 offen    // 000000004CB0: E05C1000 80046CAD
	v_mfma_scale_f32_16x16x128_f8f6f4 a[76:79], v[140:143], v[28:31], a[76:79], v160, v153 op_sel_hi:[0,0,0] cbsz:4 blgp:4// 000000004CB8: D3AC7800 000333A0 D3AD8C4C 8532398C
	ds_read_b128 v[64:67], v165 offset:64                      // 000000004CC8: D9FE0040 400000A5
	v_mfma_scale_f32_16x16x128_f8f6f4 a[64:67], v[144:147], v[32:35], a[64:67], v160, v153 op_sel_hi:[0,0,0] cbsz:4 blgp:4// 000000004CD0: D3AC6000 180333A0 D3AD8C40 85024190
	buffer_load_dwordx4 v[112:115], v172, s[16:19], 0 offen offset:1024// 000000004CE0: E05C1400 800470AC
	v_mfma_scale_f32_16x16x128_f8f6f4 a[68:71], v[144:147], v[36:39], a[68:71], v160, v153 op_sel_hi:[0,0,0] cbsz:4 blgp:4// 000000004CE8: D3AC7000 180333A0 D3AD8C44 85124990
	ds_read_b128 v[60:63], v165 offset:512                     // 000000004CF8: D9FE0200 3C0000A5
	v_mfma_scale_f32_16x16x128_f8f6f4 a[72:75], v[148:151], v[32:35], a[72:75], v160, v153 op_sel_hi:[0,0,0] cbsz:4 blgp:4// 000000004D00: D3AC6800 180333A0 D3AD8C48 85224194
	buffer_load_dwordx4 v[116:119], v173, s[16:19], 0 offen offset:1024// 000000004D10: E05C1400 800474AD
	v_mfma_scale_f32_16x16x128_f8f6f4 a[76:79], v[148:151], v[36:39], a[76:79], v160, v153 op_sel_hi:[0,0,0] cbsz:4 blgp:4// 000000004D18: D3AC7800 180333A0 D3AD8C4C 85324994
	ds_read_b128 v[68:71], v165 offset:576                     // 000000004D28: D9FE0240 440000A5
	ds_read_b32 v155, v167 offset:3072                         // 000000004D30: D86C0C00 9B0000A7
	buffer_load_dword v158, v180, s[24:27], 0 offen            // 000000004D38: E0501000 80069EB4
	s_cbranch_scc0 label_0A56                                  // 000000004D40: BF840205
	s_waitcnt vmcnt(10) lgkmcnt(5)                             // 000000004D44: BF8C057A
	v_mfma_scale_f32_16x16x128_f8f6f4 a[0:3], v[72:75], v[40:43], a[0:3], v156, v154 op_sel_hi:[0,0,0] cbsz:4 blgp:4// 000000004D48: D3AC6000 0003359C D3AD8C00 84025148
	buffer_load_dwordx4 v[120:123], v174, s[16:19], 0 offen    // 000000004D58: E05C1000 800478AE
	v_mfma_scale_f32_16x16x128_f8f6f4 a[4:7], v[72:75], v[44:47], a[4:7], v156, v154 op_sel_hi:[0,0,0] cbsz:4 blgp:4// 000000004D60: D3AC7000 0003359C D3AD8C04 84125948
	v_mfma_scale_f32_16x16x128_f8f6f4 a[8:11], v[76:79], v[40:43], a[8:11], v156, v154 op_sel_hi:[0,0,0] cbsz:4 blgp:4// 000000004D70: D3AC6800 0003359C D3AD8C08 8422514C
	buffer_load_dwordx4 v[124:127], v175, s[16:19], 0 offen    // 000000004D80: E05C1000 80047CAF
	v_mfma_scale_f32_16x16x128_f8f6f4 a[12:15], v[76:79], v[44:47], a[12:15], v156, v154 op_sel_hi:[0,0,0] cbsz:4 blgp:4// 000000004D88: D3AC7800 0003359C D3AD8C0C 8432594C
	v_mfma_scale_f32_16x16x128_f8f6f4 a[0:3], v[80:83], v[48:51], a[0:3], v156, v154 op_sel_hi:[0,0,0] cbsz:4 blgp:4// 000000004D98: D3AC6000 1803359C D3AD8C00 84026150
	buffer_load_dwordx4 v[128:131], v174, s[16:19], 0 offen offset:1024// 000000004DA8: E05C1400 800480AE
	v_mfma_scale_f32_16x16x128_f8f6f4 a[4:7], v[80:83], v[52:55], a[4:7], v156, v154 op_sel_hi:[0,0,0] cbsz:4 blgp:4// 000000004DB0: D3AC7000 1803359C D3AD8C04 84126950
	v_mfma_scale_f32_16x16x128_f8f6f4 a[8:11], v[84:87], v[48:51], a[8:11], v156, v154 op_sel_hi:[0,0,0] cbsz:4 blgp:4// 000000004DC0: D3AC6800 1803359C D3AD8C08 84226154
	buffer_load_dwordx4 v[132:135], v175, s[16:19], 0 offen offset:1024// 000000004DD0: E05C1400 800484AF
	v_mfma_scale_f32_16x16x128_f8f6f4 a[12:15], v[84:87], v[52:55], a[12:15], v156, v154 op_sel_hi:[0,0,0] cbsz:4 blgp:4// 000000004DD8: D3AC7800 1803359C D3AD8C0C 84326954
	buffer_load_dword v159, v181, s[24:27], 0 offen            // 000000004DE8: E0501000 80069FB5
	s_waitcnt vmcnt(10)                                        // 000000004DF0: BF8C0F7A
	v_mfma_scale_f32_16x16x128_f8f6f4 a[16:19], v[88:91], v[40:43], a[16:19], v157, v154 op_sel_hi:[0,0,0] cbsz:4 blgp:4// 000000004DF4: D3AC6000 0003359D D3AD8C10 84425158
	s_add_u32 s63, 0x100, s60                                  // 000000004E04: 803F3CFF 00000100
	buffer_load_dwordx4 v[136:139], v176, s[16:19], 0 offen    // 000000004E0C: E05C1000 800488B0
	v_mfma_scale_f32_16x16x128_f8f6f4 a[20:23], v[88:91], v[44:47], a[20:23], v157, v154 op_sel_hi:[0,0,0] cbsz:4 blgp:4// 000000004E14: D3AC7000 0003359D D3AD8C14 84525958
	s_cmp_lt_u32 s63, s61                                      // 000000004E24: BF0A3D3F
	s_cselect_b32 s67, s67, 0                                  // 000000004E28: 85438043
	v_mfma_scale_f32_16x16x128_f8f6f4 a[24:27], v[92:95], v[40:43], a[24:27], v157, v154 op_sel_hi:[0,0,0] cbsz:4 blgp:4// 000000004E2C: D3AC6800 0003359D D3AD8C18 8462515C
	s_cselect_b32 s69, s69, 0                                  // 000000004E3C: 85458045
	buffer_load_dwordx4 v[140:143], v177, s[16:19], 0 offen    // 000000004E40: E05C1000 80048CB1
	v_mfma_scale_f32_16x16x128_f8f6f4 a[28:31], v[92:95], v[44:47], a[28:31], v157, v154 op_sel_hi:[0,0,0] cbsz:4 blgp:4// 000000004E48: D3AC7800 0003359D D3AD8C1C 8472595C
	v_mfma_scale_f32_16x16x128_f8f6f4 a[16:19], v[96:99], v[48:51], a[16:19], v157, v154 op_sel_hi:[0,0,0] cbsz:4 blgp:4// 000000004E58: D3AC6000 1803359D D3AD8C10 84426160
	buffer_load_dwordx4 v[144:147], v176, s[16:19], 0 offen offset:1024// 000000004E68: E05C1400 800490B0
	v_mfma_scale_f32_16x16x128_f8f6f4 a[20:23], v[96:99], v[52:55], a[20:23], v157, v154 op_sel_hi:[0,0,0] cbsz:4 blgp:4// 000000004E70: D3AC7000 1803359D D3AD8C14 84526960
	v_mfma_scale_f32_16x16x128_f8f6f4 a[24:27], v[100:103], v[48:51], a[24:27], v157, v154 op_sel_hi:[0,0,0] cbsz:4 blgp:4// 000000004E80: D3AC6800 1803359D D3AD8C18 84626164
	buffer_load_dwordx4 v[148:151], v177, s[16:19], 0 offen offset:1024// 000000004E90: E05C1400 800494B1
	v_mfma_scale_f32_16x16x128_f8f6f4 a[28:31], v[100:103], v[52:55], a[28:31], v157, v154 op_sel_hi:[0,0,0] cbsz:4 blgp:4// 000000004E98: D3AC7800 1803359D D3AD8C1C 84726964
	buffer_load_dword v160, v182, s[24:27], 0 offen            // 000000004EA8: E0501000 8006A0B6
	s_add_u32 s16, s16, s67                                    // 000000004EB0: 80104310
	s_addc_u32 s17, 0, s17                                     // 000000004EB4: 82111180
	s_sub_u32 s18, s18, s67                                    // 000000004EB8: 80924312
	s_add_u32 s24, s24, s69                                    // 000000004EBC: 80184518
	s_addc_u32 s25, 0, s25                                     // 000000004EC0: 82191980
	s_sub_u32 s26, s26, s69                                    // 000000004EC4: 809A451A
	s_add_u32 m0, 0, s65                                       // 000000004EC8: 807C4180
	buffer_load_dword v166, s[20:23], 0 offen lds              // 000000004ECC: E0511000 800500A6
	s_waitcnt vmcnt(11)                                        // 000000004ED4: BF8C0F7B
	v_mfma_scale_f32_16x16x128_f8f6f4 a[32:35], v[104:107], v[40:43], a[32:35], v158, v154 op_sel_hi:[0,0,0] cbsz:4 blgp:4// 000000004ED8: D3AC6000 0003359E D3AD8C20 84825168
	s_add_u32 m0, 0, s64                                       // 000000004EE8: 807C4080
	buffer_load_dwordx4 v161, s[12:15], 0 offen lds            // 000000004EEC: E05D1000 800300A1
	v_mfma_scale_f32_16x16x128_f8f6f4 a[36:39], v[104:107], v[44:47], a[36:39], v158, v154 op_sel_hi:[0,0,0] cbsz:4 blgp:4// 000000004EF4: D3AC7000 0003359E D3AD8C24 84925968
	s_add_u32 s62, 0x300, s60                                  // 000000004F04: 803E3CFF 00000300
	s_cmp_lt_u32 s62, s61                                      // 000000004F0C: BF0A3D3E
	v_mfma_scale_f32_16x16x128_f8f6f4 a[40:43], v[108:111], v[40:43], a[40:43], v158, v154 op_sel_hi:[0,0,0] cbsz:4 blgp:4// 000000004F10: D3AC6800 0003359E D3AD8C28 84A2516C
	s_cselect_b32 s66, s66, 0                                  // 000000004F20: 85428042
	buffer_load_dwordx4 v[72:75], v168, s[16:19], 0 offen      // 000000004F24: E05C1000 800448A8
	v_mfma_scale_f32_16x16x128_f8f6f4 a[44:47], v[108:111], v[44:47], a[44:47], v158, v154 op_sel_hi:[0,0,0] cbsz:4 blgp:4// 000000004F2C: D3AC7800 0003359E D3AD8C2C 84B2596C
	s_cselect_b32 s68, s68, 0                                  // 000000004F3C: 85448044
	s_add_u32 s12, s12, s66                                    // 000000004F40: 800C420C
	v_mfma_scale_f32_16x16x128_f8f6f4 a[32:35], v[112:115], v[48:51], a[32:35], v158, v154 op_sel_hi:[0,0,0] cbsz:4 blgp:4// 000000004F44: D3AC6000 1803359E D3AD8C20 84826170
	s_addc_u32 s13, 0, s13                                     // 000000004F54: 820D0D80
	buffer_load_dwordx4 v[76:79], v169, s[16:19], 0 offen      // 000000004F58: E05C1000 80044CA9
	v_mfma_scale_f32_16x16x128_f8f6f4 a[36:39], v[112:115], v[52:55], a[36:39], v158, v154 op_sel_hi:[0,0,0] cbsz:4 blgp:4// 000000004F60: D3AC7000 1803359E D3AD8C24 84926970
	s_sub_u32 s14, s14, s66                                    // 000000004F70: 808E420E
	s_add_u32 s20, s20, s68                                    // 000000004F74: 80144414
	v_mfma_scale_f32_16x16x128_f8f6f4 a[40:43], v[116:119], v[48:51], a[40:43], v158, v154 op_sel_hi:[0,0,0] cbsz:4 blgp:4// 000000004F78: D3AC6800 1803359E D3AD8C28 84A26174
	s_addc_u32 s21, 0, s21                                     // 000000004F88: 82151580
	buffer_load_dwordx4 v[80:83], v168, s[16:19], 0 offen offset:1024// 000000004F8C: E05C1400 800450A8
	v_mfma_scale_f32_16x16x128_f8f6f4 a[44:47], v[116:119], v[52:55], a[44:47], v158, v154 op_sel_hi:[0,0,0] cbsz:4 blgp:4// 000000004F94: D3AC7800 1803359E D3AD8C2C 84B26974
	s_sub_u32 s22, s22, s68                                    // 000000004FA4: 80964416
	buffer_load_dwordx4 v[84:87], v169, s[16:19], 0 offen offset:1024// 000000004FA8: E05C1400 800454A9
	buffer_load_dword v156, v178, s[24:27], 0 offen            // 000000004FB0: E0501000 80069CB2
	s_waitcnt vmcnt(12)                                        // 000000004FB8: BF8C0F7C
	v_mfma_scale_f32_16x16x128_f8f6f4 a[48:51], v[120:123], v[40:43], a[48:51], v159, v154 op_sel_hi:[0,0,0] cbsz:4 blgp:4// 000000004FBC: D3AC6000 0003359F D3AD8C30 84C25178
	buffer_load_dwordx4 v[88:91], v170, s[16:19], 0 offen      // 000000004FCC: E05C1000 800458AA
	v_mfma_scale_f32_16x16x128_f8f6f4 a[52:55], v[120:123], v[44:47], a[52:55], v159, v154 op_sel_hi:[0,0,0] cbsz:4 blgp:4// 000000004FD4: D3AC7000 0003359F D3AD8C34 84D25978
	v_mfma_scale_f32_16x16x128_f8f6f4 a[56:59], v[124:127], v[40:43], a[56:59], v159, v154 op_sel_hi:[0,0,0] cbsz:4 blgp:4// 000000004FE4: D3AC6800 0003359F D3AD8C38 84E2517C
	buffer_load_dwordx4 v[92:95], v171, s[16:19], 0 offen      // 000000004FF4: E05C1000 80045CAB
	v_mfma_scale_f32_16x16x128_f8f6f4 a[60:63], v[124:127], v[44:47], a[60:63], v159, v154 op_sel_hi:[0,0,0] cbsz:4 blgp:4// 000000004FFC: D3AC7800 0003359F D3AD8C3C 84F2597C
	v_mfma_scale_f32_16x16x128_f8f6f4 a[48:51], v[128:131], v[48:51], a[48:51], v159, v154 op_sel_hi:[0,0,0] cbsz:4 blgp:4// 00000000500C: D3AC6000 1803359F D3AD8C30 84C26180
	buffer_load_dwordx4 v[96:99], v170, s[16:19], 0 offen offset:1024// 00000000501C: E05C1400 800460AA
	v_mfma_scale_f32_16x16x128_f8f6f4 a[52:55], v[128:131], v[52:55], a[52:55], v159, v154 op_sel_hi:[0,0,0] cbsz:4 blgp:4// 000000005024: D3AC7000 1803359F D3AD8C34 84D26980
	v_mfma_scale_f32_16x16x128_f8f6f4 a[56:59], v[132:135], v[48:51], a[56:59], v159, v154 op_sel_hi:[0,0,0] cbsz:4 blgp:4// 000000005034: D3AC6800 1803359F D3AD8C38 84E26184
	buffer_load_dwordx4 v[100:103], v171, s[16:19], 0 offen offset:1024// 000000005044: E05C1400 800464AB
	v_mfma_scale_f32_16x16x128_f8f6f4 a[60:63], v[132:135], v[52:55], a[60:63], v159, v154 op_sel_hi:[0,0,0] cbsz:4 blgp:4// 00000000504C: D3AC7800 1803359F D3AD8C3C 84F26984
	buffer_load_dword v157, v179, s[24:27], 0 offen            // 00000000505C: E0501000 80069DB3
	s_waitcnt vmcnt(10)                                        // 000000005064: BF8C0F7A
	s_barrier                                                  // 000000005068: BF8A0000
	v_mfma_scale_f32_16x16x128_f8f6f4 a[64:67], v[136:139], v[40:43], a[64:67], v160, v154 op_sel_hi:[0,0,0] cbsz:4 blgp:4// 00000000506C: D3AC6000 000335A0 D3AD8C40 85025188
	s_addk_i32 s60, 0x100                                      // 00000000507C: B73C0100
	buffer_load_dwordx4 v[104:107], v172, s[16:19], 0 offen    // 000000005080: E05C1000 800468AC
	v_mfma_scale_f32_16x16x128_f8f6f4 a[68:71], v[136:139], v[44:47], a[68:71], v160, v154 op_sel_hi:[0,0,0] cbsz:4 blgp:4// 000000005088: D3AC7000 000335A0 D3AD8C44 85125988
	s_cmp_lt_i32 s60, s61                                      // 000000005098: BF043D3C
	ds_read_b128 v[8:11], v162                                 // 00000000509C: D9FE0000 080000A2
	v_mfma_scale_f32_16x16x128_f8f6f4 a[72:75], v[140:143], v[40:43], a[72:75], v160, v154 op_sel_hi:[0,0,0] cbsz:4 blgp:4// 0000000050A4: D3AC6800 000335A0 D3AD8C48 8522518C
	buffer_load_dwordx4 v[108:111], v173, s[16:19], 0 offen    // 0000000050B4: E05C1000 80046CAD
	v_mfma_scale_f32_16x16x128_f8f6f4 a[76:79], v[140:143], v[44:47], a[76:79], v160, v154 op_sel_hi:[0,0,0] cbsz:4 blgp:4// 0000000050BC: D3AC7800 000335A0 D3AD8C4C 8532598C
	ds_read_b128 v[16:19], v162 offset:64                      // 0000000050CC: D9FE0040 100000A2
	v_mfma_scale_f32_16x16x128_f8f6f4 a[64:67], v[144:147], v[48:51], a[64:67], v160, v154 op_sel_hi:[0,0,0] cbsz:4 blgp:4// 0000000050D4: D3AC6000 180335A0 D3AD8C40 85026190
	buffer_load_dwordx4 v[112:115], v172, s[16:19], 0 offen offset:1024// 0000000050E4: E05C1400 800470AC
	v_mfma_scale_f32_16x16x128_f8f6f4 a[68:71], v[144:147], v[52:55], a[68:71], v160, v154 op_sel_hi:[0,0,0] cbsz:4 blgp:4// 0000000050EC: D3AC7000 180335A0 D3AD8C44 85126990
	ds_read_b128 v[12:15], v162 offset:512                     // 0000000050FC: D9FE0200 0C0000A2
	v_mfma_scale_f32_16x16x128_f8f6f4 a[72:75], v[148:151], v[48:51], a[72:75], v160, v154 op_sel_hi:[0,0,0] cbsz:4 blgp:4// 000000005104: D3AC6800 180335A0 D3AD8C48 85226194
	buffer_load_dwordx4 v[116:119], v173, s[16:19], 0 offen offset:1024// 000000005114: E05C1400 800474AD
	v_mfma_scale_f32_16x16x128_f8f6f4 a[76:79], v[148:151], v[52:55], a[76:79], v160, v154 op_sel_hi:[0,0,0] cbsz:4 blgp:4// 00000000511C: D3AC7800 180335A0 D3AD8C4C 85326994
	ds_read_b128 v[20:23], v162 offset:576                     // 00000000512C: D9FE0240 140000A2
	ds_read_b32 v152, v167                                     // 000000005134: D86C0000 980000A7
	buffer_load_dword v158, v180, s[24:27], 0 offen            // 00000000513C: E0501000 80069EB4
	s_cbranch_scc0 label_0A56                                  // 000000005144: BF840104
	s_waitcnt vmcnt(10) lgkmcnt(5)                             // 000000005148: BF8C057A
	v_mfma_scale_f32_16x16x128_f8f6f4 a[0:3], v[72:75], v[56:59], a[0:3], v156, v155 op_sel_hi:[0,0,0] cbsz:4 blgp:4// 00000000514C: D3AC6000 0003379C D3AD8C00 84027148
	buffer_load_dwordx4 v[120:123], v174, s[16:19], 0 offen    // 00000000515C: E05C1000 800478AE
	v_mfma_scale_f32_16x16x128_f8f6f4 a[4:7], v[72:75], v[60:63], a[4:7], v156, v155 op_sel_hi:[0,0,0] cbsz:4 blgp:4// 000000005164: D3AC7000 0003379C D3AD8C04 84127948
	v_mfma_scale_f32_16x16x128_f8f6f4 a[8:11], v[76:79], v[56:59], a[8:11], v156, v155 op_sel_hi:[0,0,0] cbsz:4 blgp:4// 000000005174: D3AC6800 0003379C D3AD8C08 8422714C
	buffer_load_dwordx4 v[124:127], v175, s[16:19], 0 offen    // 000000005184: E05C1000 80047CAF
	v_mfma_scale_f32_16x16x128_f8f6f4 a[12:15], v[76:79], v[60:63], a[12:15], v156, v155 op_sel_hi:[0,0,0] cbsz:4 blgp:4// 00000000518C: D3AC7800 0003379C D3AD8C0C 8432794C
	v_mfma_scale_f32_16x16x128_f8f6f4 a[0:3], v[80:83], v[64:67], a[0:3], v156, v155 op_sel_hi:[0,0,0] cbsz:4 blgp:4// 00000000519C: D3AC6000 1803379C D3AD8C00 84028150
	buffer_load_dwordx4 v[128:131], v174, s[16:19], 0 offen offset:1024// 0000000051AC: E05C1400 800480AE
	v_mfma_scale_f32_16x16x128_f8f6f4 a[4:7], v[80:83], v[68:71], a[4:7], v156, v155 op_sel_hi:[0,0,0] cbsz:4 blgp:4// 0000000051B4: D3AC7000 1803379C D3AD8C04 84128950
	v_mfma_scale_f32_16x16x128_f8f6f4 a[8:11], v[84:87], v[64:67], a[8:11], v156, v155 op_sel_hi:[0,0,0] cbsz:4 blgp:4// 0000000051C4: D3AC6800 1803379C D3AD8C08 84228154
	buffer_load_dwordx4 v[132:135], v175, s[16:19], 0 offen offset:1024// 0000000051D4: E05C1400 800484AF
	v_mfma_scale_f32_16x16x128_f8f6f4 a[12:15], v[84:87], v[68:71], a[12:15], v156, v155 op_sel_hi:[0,0,0] cbsz:4 blgp:4// 0000000051DC: D3AC7800 1803379C D3AD8C0C 84328954
	buffer_load_dword v159, v181, s[24:27], 0 offen            // 0000000051EC: E0501000 80069FB5
	s_waitcnt vmcnt(10)                                        // 0000000051F4: BF8C0F7A
	v_mfma_scale_f32_16x16x128_f8f6f4 a[16:19], v[88:91], v[56:59], a[16:19], v157, v155 op_sel_hi:[0,0,0] cbsz:4 blgp:4// 0000000051F8: D3AC6000 0003379D D3AD8C10 84427158
	s_add_u32 s63, 0x100, s60                                  // 000000005208: 803F3CFF 00000100
	buffer_load_dwordx4 v[136:139], v176, s[16:19], 0 offen    // 000000005210: E05C1000 800488B0
	v_mfma_scale_f32_16x16x128_f8f6f4 a[20:23], v[88:91], v[60:63], a[20:23], v157, v155 op_sel_hi:[0,0,0] cbsz:4 blgp:4// 000000005218: D3AC7000 0003379D D3AD8C14 84527958
	s_cmp_lt_u32 s63, s61                                      // 000000005228: BF0A3D3F
	s_cselect_b32 s67, s67, 0                                  // 00000000522C: 85438043
	v_mfma_scale_f32_16x16x128_f8f6f4 a[24:27], v[92:95], v[56:59], a[24:27], v157, v155 op_sel_hi:[0,0,0] cbsz:4 blgp:4// 000000005230: D3AC6800 0003379D D3AD8C18 8462715C
	s_cselect_b32 s69, s69, 0                                  // 000000005240: 85458045
	buffer_load_dwordx4 v[140:143], v177, s[16:19], 0 offen    // 000000005244: E05C1000 80048CB1
	v_mfma_scale_f32_16x16x128_f8f6f4 a[28:31], v[92:95], v[60:63], a[28:31], v157, v155 op_sel_hi:[0,0,0] cbsz:4 blgp:4// 00000000524C: D3AC7800 0003379D D3AD8C1C 8472795C
	v_mfma_scale_f32_16x16x128_f8f6f4 a[16:19], v[96:99], v[64:67], a[16:19], v157, v155 op_sel_hi:[0,0,0] cbsz:4 blgp:4// 00000000525C: D3AC6000 1803379D D3AD8C10 84428160
	buffer_load_dwordx4 v[144:147], v176, s[16:19], 0 offen offset:1024// 00000000526C: E05C1400 800490B0
	v_mfma_scale_f32_16x16x128_f8f6f4 a[20:23], v[96:99], v[68:71], a[20:23], v157, v155 op_sel_hi:[0,0,0] cbsz:4 blgp:4// 000000005274: D3AC7000 1803379D D3AD8C14 84528960
	v_mfma_scale_f32_16x16x128_f8f6f4 a[24:27], v[100:103], v[64:67], a[24:27], v157, v155 op_sel_hi:[0,0,0] cbsz:4 blgp:4// 000000005284: D3AC6800 1803379D D3AD8C18 84628164
	buffer_load_dwordx4 v[148:151], v177, s[16:19], 0 offen offset:1024// 000000005294: E05C1400 800494B1
	v_mfma_scale_f32_16x16x128_f8f6f4 a[28:31], v[100:103], v[68:71], a[28:31], v157, v155 op_sel_hi:[0,0,0] cbsz:4 blgp:4// 00000000529C: D3AC7800 1803379D D3AD8C1C 84728964
	buffer_load_dword v160, v182, s[24:27], 0 offen            // 0000000052AC: E0501000 8006A0B6
	s_add_u32 s16, s16, s67                                    // 0000000052B4: 80104310
	s_addc_u32 s17, 0, s17                                     // 0000000052B8: 82111180
	s_sub_u32 s18, s18, s67                                    // 0000000052BC: 80924312
	s_add_u32 s24, s24, s69                                    // 0000000052C0: 80184518
	s_addc_u32 s25, 0, s25                                     // 0000000052C4: 82191980
	s_sub_u32 s26, s26, s69                                    // 0000000052C8: 809A451A
	s_add_u32 m0, 0x400, s65                                   // 0000000052CC: 807C41FF 00000400
	buffer_load_dword v166, s[20:23], 0 offen lds              // 0000000052D4: E0511000 800500A6
	s_waitcnt vmcnt(11)                                        // 0000000052DC: BF8C0F7B
	v_mfma_scale_f32_16x16x128_f8f6f4 a[32:35], v[104:107], v[56:59], a[32:35], v158, v155 op_sel_hi:[0,0,0] cbsz:4 blgp:4// 0000000052E0: D3AC6000 0003379E D3AD8C20 84827168
	s_add_u32 m0, 0x1080, s64                                  // 0000000052F0: 807C40FF 00001080
	buffer_load_dwordx4 v161, s[12:15], 0 offen lds            // 0000000052F8: E05D1000 800300A1
	v_mfma_scale_f32_16x16x128_f8f6f4 a[36:39], v[104:107], v[60:63], a[36:39], v158, v155 op_sel_hi:[0,0,0] cbsz:4 blgp:4// 000000005300: D3AC7000 0003379E D3AD8C24 84927968
	s_add_u32 s62, 0x300, s60                                  // 000000005310: 803E3CFF 00000300
	s_cmp_lt_u32 s62, s61                                      // 000000005318: BF0A3D3E
	v_mfma_scale_f32_16x16x128_f8f6f4 a[40:43], v[108:111], v[56:59], a[40:43], v158, v155 op_sel_hi:[0,0,0] cbsz:4 blgp:4// 00000000531C: D3AC6800 0003379E D3AD8C28 84A2716C
	s_cselect_b32 s66, s66, 0                                  // 00000000532C: 85428042
	buffer_load_dwordx4 v[72:75], v168, s[16:19], 0 offen      // 000000005330: E05C1000 800448A8
	v_mfma_scale_f32_16x16x128_f8f6f4 a[44:47], v[108:111], v[60:63], a[44:47], v158, v155 op_sel_hi:[0,0,0] cbsz:4 blgp:4// 000000005338: D3AC7800 0003379E D3AD8C2C 84B2796C
	s_cselect_b32 s68, s68, 0                                  // 000000005348: 85448044
	s_add_u32 s12, s12, s66                                    // 00000000534C: 800C420C
	v_mfma_scale_f32_16x16x128_f8f6f4 a[32:35], v[112:115], v[64:67], a[32:35], v158, v155 op_sel_hi:[0,0,0] cbsz:4 blgp:4// 000000005350: D3AC6000 1803379E D3AD8C20 84828170
	s_addc_u32 s13, 0, s13                                     // 000000005360: 820D0D80
	buffer_load_dwordx4 v[76:79], v169, s[16:19], 0 offen      // 000000005364: E05C1000 80044CA9
	v_mfma_scale_f32_16x16x128_f8f6f4 a[36:39], v[112:115], v[68:71], a[36:39], v158, v155 op_sel_hi:[0,0,0] cbsz:4 blgp:4// 00000000536C: D3AC7000 1803379E D3AD8C24 84928970
	s_sub_u32 s14, s14, s66                                    // 00000000537C: 808E420E
	s_add_u32 s20, s20, s68                                    // 000000005380: 80144414
	v_mfma_scale_f32_16x16x128_f8f6f4 a[40:43], v[116:119], v[64:67], a[40:43], v158, v155 op_sel_hi:[0,0,0] cbsz:4 blgp:4// 000000005384: D3AC6800 1803379E D3AD8C28 84A28174
	s_addc_u32 s21, 0, s21                                     // 000000005394: 82151580
	buffer_load_dwordx4 v[80:83], v168, s[16:19], 0 offen offset:1024// 000000005398: E05C1400 800450A8
	v_mfma_scale_f32_16x16x128_f8f6f4 a[44:47], v[116:119], v[68:71], a[44:47], v158, v155 op_sel_hi:[0,0,0] cbsz:4 blgp:4// 0000000053A0: D3AC7800 1803379E D3AD8C2C 84B28974
	s_sub_u32 s22, s22, s68                                    // 0000000053B0: 80964416
	buffer_load_dwordx4 v[84:87], v169, s[16:19], 0 offen offset:1024// 0000000053B4: E05C1400 800454A9
	buffer_load_dword v156, v178, s[24:27], 0 offen            // 0000000053BC: E0501000 80069CB2
	s_waitcnt vmcnt(12)                                        // 0000000053C4: BF8C0F7C
	v_mfma_scale_f32_16x16x128_f8f6f4 a[48:51], v[120:123], v[56:59], a[48:51], v159, v155 op_sel_hi:[0,0,0] cbsz:4 blgp:4// 0000000053C8: D3AC6000 0003379F D3AD8C30 84C27178
	buffer_load_dwordx4 v[88:91], v170, s[16:19], 0 offen      // 0000000053D8: E05C1000 800458AA
	v_mfma_scale_f32_16x16x128_f8f6f4 a[52:55], v[120:123], v[60:63], a[52:55], v159, v155 op_sel_hi:[0,0,0] cbsz:4 blgp:4// 0000000053E0: D3AC7000 0003379F D3AD8C34 84D27978
	v_mfma_scale_f32_16x16x128_f8f6f4 a[56:59], v[124:127], v[56:59], a[56:59], v159, v155 op_sel_hi:[0,0,0] cbsz:4 blgp:4// 0000000053F0: D3AC6800 0003379F D3AD8C38 84E2717C
	buffer_load_dwordx4 v[92:95], v171, s[16:19], 0 offen      // 000000005400: E05C1000 80045CAB
	v_mfma_scale_f32_16x16x128_f8f6f4 a[60:63], v[124:127], v[60:63], a[60:63], v159, v155 op_sel_hi:[0,0,0] cbsz:4 blgp:4// 000000005408: D3AC7800 0003379F D3AD8C3C 84F2797C
	v_mfma_scale_f32_16x16x128_f8f6f4 a[48:51], v[128:131], v[64:67], a[48:51], v159, v155 op_sel_hi:[0,0,0] cbsz:4 blgp:4// 000000005418: D3AC6000 1803379F D3AD8C30 84C28180
	buffer_load_dwordx4 v[96:99], v170, s[16:19], 0 offen offset:1024// 000000005428: E05C1400 800460AA
	v_mfma_scale_f32_16x16x128_f8f6f4 a[52:55], v[128:131], v[68:71], a[52:55], v159, v155 op_sel_hi:[0,0,0] cbsz:4 blgp:4// 000000005430: D3AC7000 1803379F D3AD8C34 84D28980
	v_mfma_scale_f32_16x16x128_f8f6f4 a[56:59], v[132:135], v[64:67], a[56:59], v159, v155 op_sel_hi:[0,0,0] cbsz:4 blgp:4// 000000005440: D3AC6800 1803379F D3AD8C38 84E28184
	buffer_load_dwordx4 v[100:103], v171, s[16:19], 0 offen offset:1024// 000000005450: E05C1400 800464AB
	v_mfma_scale_f32_16x16x128_f8f6f4 a[60:63], v[132:135], v[68:71], a[60:63], v159, v155 op_sel_hi:[0,0,0] cbsz:4 blgp:4// 000000005458: D3AC7800 1803379F D3AD8C3C 84F28984
	buffer_load_dword v157, v179, s[24:27], 0 offen            // 000000005468: E0501000 80069DB3
	s_waitcnt vmcnt(10)                                        // 000000005470: BF8C0F7A
	s_barrier                                                  // 000000005474: BF8A0000
	v_mfma_scale_f32_16x16x128_f8f6f4 a[64:67], v[136:139], v[56:59], a[64:67], v160, v155 op_sel_hi:[0,0,0] cbsz:4 blgp:4// 000000005478: D3AC6000 000337A0 D3AD8C40 85027188
	s_addk_i32 s60, 0x100                                      // 000000005488: B73C0100
	buffer_load_dwordx4 v[104:107], v172, s[16:19], 0 offen    // 00000000548C: E05C1000 800468AC
	v_mfma_scale_f32_16x16x128_f8f6f4 a[68:71], v[136:139], v[60:63], a[68:71], v160, v155 op_sel_hi:[0,0,0] cbsz:4 blgp:4// 000000005494: D3AC7000 000337A0 D3AD8C44 85127988
	s_cmp_lt_i32 s60, s61                                      // 0000000054A4: BF043D3C
	ds_read_b128 v[24:27], v163                                // 0000000054A8: D9FE0000 180000A3
	v_mfma_scale_f32_16x16x128_f8f6f4 a[72:75], v[140:143], v[56:59], a[72:75], v160, v155 op_sel_hi:[0,0,0] cbsz:4 blgp:4// 0000000054B0: D3AC6800 000337A0 D3AD8C48 8522718C
	buffer_load_dwordx4 v[108:111], v173, s[16:19], 0 offen    // 0000000054C0: E05C1000 80046CAD
	v_mfma_scale_f32_16x16x128_f8f6f4 a[76:79], v[140:143], v[60:63], a[76:79], v160, v155 op_sel_hi:[0,0,0] cbsz:4 blgp:4// 0000000054C8: D3AC7800 000337A0 D3AD8C4C 8532798C
	ds_read_b128 v[32:35], v163 offset:64                      // 0000000054D8: D9FE0040 200000A3
	v_mfma_scale_f32_16x16x128_f8f6f4 a[64:67], v[144:147], v[64:67], a[64:67], v160, v155 op_sel_hi:[0,0,0] cbsz:4 blgp:4// 0000000054E0: D3AC6000 180337A0 D3AD8C40 85028190
	buffer_load_dwordx4 v[112:115], v172, s[16:19], 0 offen offset:1024// 0000000054F0: E05C1400 800470AC
	v_mfma_scale_f32_16x16x128_f8f6f4 a[68:71], v[144:147], v[68:71], a[68:71], v160, v155 op_sel_hi:[0,0,0] cbsz:4 blgp:4// 0000000054F8: D3AC7000 180337A0 D3AD8C44 85128990
	ds_read_b128 v[28:31], v163 offset:512                     // 000000005508: D9FE0200 1C0000A3
	v_mfma_scale_f32_16x16x128_f8f6f4 a[72:75], v[148:151], v[64:67], a[72:75], v160, v155 op_sel_hi:[0,0,0] cbsz:4 blgp:4// 000000005510: D3AC6800 180337A0 D3AD8C48 85228194
	buffer_load_dwordx4 v[116:119], v173, s[16:19], 0 offen offset:1024// 000000005520: E05C1400 800474AD
	v_mfma_scale_f32_16x16x128_f8f6f4 a[76:79], v[148:151], v[68:71], a[76:79], v160, v155 op_sel_hi:[0,0,0] cbsz:4 blgp:4// 000000005528: D3AC7800 180337A0 D3AD8C4C 85328994
	ds_read_b128 v[36:39], v163 offset:576                     // 000000005538: D9FE0240 240000A3
	ds_read_b32 v153, v167 offset:1024                         // 000000005540: D86C0400 990000A7
	buffer_load_dword v158, v180, s[24:27], 0 offen            // 000000005548: E0501000 80069EB4
	s_cbranch_scc0 label_0A56                                  // 000000005550: BF840001
	s_branch label_064B                                        // 000000005554: BF82FBF5

0000000000005558 <label_0A56>:
	s_waitcnt lgkmcnt(0)                                       // 000000005558: BF8CC07F
	s_mul_i32 s62, s47, 0x280                                  // 00000000555C: 923EFF2F 00000280
	s_mul_i32 s63, s46, 0xa0                                   // 000000005564: 923FFF2E 000000A0
	s_add_u32 s60, s62, s63                                    // 00000000556C: 803C3F3E
	s_add_u32 s62, s60, 0xa0                                   // 000000005570: 803EFF3C 000000A0
	s_cmp_lt_i32 s44, s62                                      // 000000005578: BF043E2C
	s_cbranch_scc1 label_0BAA                                  // 00000000557C: BF85014A
	s_mul_i32 s62, s36, 16                                     // 000000005580: 923E9024
	v_add_u32_e32 v187, 0, v183                                // 000000005584: 69776E80
	v_accvgpr_read_b32 v8, a0                                  // 000000005588: D3D84008 18000100
	v_accvgpr_read_b32 v9, a1                                  // 000000005590: D3D84009 18000101
	v_accvgpr_read_b32 v10, a2                                 // 000000005598: D3D8400A 18000102
	v_accvgpr_read_b32 v11, a3                                 // 0000000055A0: D3D8400B 18000103
	v_accvgpr_read_b32 v12, a8                                 // 0000000055A8: D3D8400C 18000108
	v_accvgpr_read_b32 v13, a9                                 // 0000000055B0: D3D8400D 18000109
	v_accvgpr_read_b32 v14, a10                                // 0000000055B8: D3D8400E 1800010A
	v_accvgpr_read_b32 v15, a11                                // 0000000055C0: D3D8400F 1800010B
	v_cvt_pk_bf16_f32 v16, v8, v9                              // 0000000055C8: D2680010 00021308
	v_cvt_pk_bf16_f32 v17, v10, v11                            // 0000000055D0: D2680011 0002170A
	v_cvt_pk_bf16_f32 v18, v12, v13                            // 0000000055D8: D2680012 00021B0C
	v_cvt_pk_bf16_f32 v19, v14, v15                            // 0000000055E0: D2680013 00021F0E
	s_nop 1                                                    // 0000000055E8: BF800001
	v_permlane16_swap_b32_e32 v16, v18                         // 0000000055EC: 7E20B312
	s_nop 1                                                    // 0000000055F0: BF800001
	v_permlane16_swap_b32_e32 v17, v19                         // 0000000055F4: 7E22B313
	s_nop 1                                                    // 0000000055F8: BF800001
	buffer_store_dwordx4 v[16:19], v187, s[4:7], 0 offen       // 0000000055FC: E07C1000 800110BB
	v_add_u32_e32 v187, s62, v187                              // 000000005604: 6977763E
	v_accvgpr_read_b32 v8, a4                                  // 000000005608: D3D84008 18000104
	v_accvgpr_read_b32 v9, a5                                  // 000000005610: D3D84009 18000105
	v_accvgpr_read_b32 v10, a6                                 // 000000005618: D3D8400A 18000106
	v_accvgpr_read_b32 v11, a7                                 // 000000005620: D3D8400B 18000107
	v_accvgpr_read_b32 v12, a12                                // 000000005628: D3D8400C 1800010C
	v_accvgpr_read_b32 v13, a13                                // 000000005630: D3D8400D 1800010D
	v_accvgpr_read_b32 v14, a14                                // 000000005638: D3D8400E 1800010E
	v_accvgpr_read_b32 v15, a15                                // 000000005640: D3D8400F 1800010F
	v_cvt_pk_bf16_f32 v16, v8, v9                              // 000000005648: D2680010 00021308
	v_cvt_pk_bf16_f32 v17, v10, v11                            // 000000005650: D2680011 0002170A
	v_cvt_pk_bf16_f32 v18, v12, v13                            // 000000005658: D2680012 00021B0C
	v_cvt_pk_bf16_f32 v19, v14, v15                            // 000000005660: D2680013 00021F0E
	s_nop 1                                                    // 000000005668: BF800001
	v_permlane16_swap_b32_e32 v16, v18                         // 00000000566C: 7E20B312
	s_nop 1                                                    // 000000005670: BF800001
	v_permlane16_swap_b32_e32 v17, v19                         // 000000005674: 7E22B313
	s_nop 1                                                    // 000000005678: BF800001
	buffer_store_dwordx4 v[16:19], v187, s[4:7], 0 offen       // 00000000567C: E07C1000 800110BB
	v_add_u32_e32 v187, s62, v187                              // 000000005684: 6977763E
	v_add_u32_e32 v187, 64, v183                               // 000000005688: 69776EC0
	v_accvgpr_read_b32 v8, a16                                 // 00000000568C: D3D84008 18000110
	v_accvgpr_read_b32 v9, a17                                 // 000000005694: D3D84009 18000111
	v_accvgpr_read_b32 v10, a18                                // 00000000569C: D3D8400A 18000112
	v_accvgpr_read_b32 v11, a19                                // 0000000056A4: D3D8400B 18000113
	v_accvgpr_read_b32 v12, a24                                // 0000000056AC: D3D8400C 18000118
	v_accvgpr_read_b32 v13, a25                                // 0000000056B4: D3D8400D 18000119
	v_accvgpr_read_b32 v14, a26                                // 0000000056BC: D3D8400E 1800011A
	v_accvgpr_read_b32 v15, a27                                // 0000000056C4: D3D8400F 1800011B
	v_cvt_pk_bf16_f32 v16, v8, v9                              // 0000000056CC: D2680010 00021308
	v_cvt_pk_bf16_f32 v17, v10, v11                            // 0000000056D4: D2680011 0002170A
	v_cvt_pk_bf16_f32 v18, v12, v13                            // 0000000056DC: D2680012 00021B0C
	v_cvt_pk_bf16_f32 v19, v14, v15                            // 0000000056E4: D2680013 00021F0E
	s_nop 1                                                    // 0000000056EC: BF800001
	v_permlane16_swap_b32_e32 v16, v18                         // 0000000056F0: 7E20B312
	s_nop 1                                                    // 0000000056F4: BF800001
	v_permlane16_swap_b32_e32 v17, v19                         // 0000000056F8: 7E22B313
	s_nop 1                                                    // 0000000056FC: BF800001
	buffer_store_dwordx4 v[16:19], v187, s[4:7], 0 offen       // 000000005700: E07C1000 800110BB
	v_add_u32_e32 v187, s62, v187                              // 000000005708: 6977763E
	v_accvgpr_read_b32 v8, a20                                 // 00000000570C: D3D84008 18000114
	v_accvgpr_read_b32 v9, a21                                 // 000000005714: D3D84009 18000115
	v_accvgpr_read_b32 v10, a22                                // 00000000571C: D3D8400A 18000116
	v_accvgpr_read_b32 v11, a23                                // 000000005724: D3D8400B 18000117
	v_accvgpr_read_b32 v12, a28                                // 00000000572C: D3D8400C 1800011C
	v_accvgpr_read_b32 v13, a29                                // 000000005734: D3D8400D 1800011D
	v_accvgpr_read_b32 v14, a30                                // 00000000573C: D3D8400E 1800011E
	v_accvgpr_read_b32 v15, a31                                // 000000005744: D3D8400F 1800011F
	v_cvt_pk_bf16_f32 v16, v8, v9                              // 00000000574C: D2680010 00021308
	v_cvt_pk_bf16_f32 v17, v10, v11                            // 000000005754: D2680011 0002170A
	v_cvt_pk_bf16_f32 v18, v12, v13                            // 00000000575C: D2680012 00021B0C
	v_cvt_pk_bf16_f32 v19, v14, v15                            // 000000005764: D2680013 00021F0E
	s_nop 1                                                    // 00000000576C: BF800001
	v_permlane16_swap_b32_e32 v16, v18                         // 000000005770: 7E20B312
	s_nop 1                                                    // 000000005774: BF800001
	v_permlane16_swap_b32_e32 v17, v19                         // 000000005778: 7E22B313
	s_nop 1                                                    // 00000000577C: BF800001
	buffer_store_dwordx4 v[16:19], v187, s[4:7], 0 offen       // 000000005780: E07C1000 800110BB
	v_add_u32_e32 v187, s62, v187                              // 000000005788: 6977763E
	v_add_u32_e32 v187, 0x80, v183                             // 00000000578C: 69776EFF 00000080
	v_accvgpr_read_b32 v8, a32                                 // 000000005794: D3D84008 18000120
	v_accvgpr_read_b32 v9, a33                                 // 00000000579C: D3D84009 18000121
	v_accvgpr_read_b32 v10, a34                                // 0000000057A4: D3D8400A 18000122
	v_accvgpr_read_b32 v11, a35                                // 0000000057AC: D3D8400B 18000123
	v_accvgpr_read_b32 v12, a40                                // 0000000057B4: D3D8400C 18000128
	v_accvgpr_read_b32 v13, a41                                // 0000000057BC: D3D8400D 18000129
	v_accvgpr_read_b32 v14, a42                                // 0000000057C4: D3D8400E 1800012A
	v_accvgpr_read_b32 v15, a43                                // 0000000057CC: D3D8400F 1800012B
	v_cvt_pk_bf16_f32 v16, v8, v9                              // 0000000057D4: D2680010 00021308
	v_cvt_pk_bf16_f32 v17, v10, v11                            // 0000000057DC: D2680011 0002170A
	v_cvt_pk_bf16_f32 v18, v12, v13                            // 0000000057E4: D2680012 00021B0C
	v_cvt_pk_bf16_f32 v19, v14, v15                            // 0000000057EC: D2680013 00021F0E
	s_nop 1                                                    // 0000000057F4: BF800001
	v_permlane16_swap_b32_e32 v16, v18                         // 0000000057F8: 7E20B312
	s_nop 1                                                    // 0000000057FC: BF800001
	v_permlane16_swap_b32_e32 v17, v19                         // 000000005800: 7E22B313
	s_nop 1                                                    // 000000005804: BF800001
	buffer_store_dwordx4 v[16:19], v187, s[4:7], 0 offen       // 000000005808: E07C1000 800110BB
	v_add_u32_e32 v187, s62, v187                              // 000000005810: 6977763E
	v_accvgpr_read_b32 v8, a36                                 // 000000005814: D3D84008 18000124
	v_accvgpr_read_b32 v9, a37                                 // 00000000581C: D3D84009 18000125
	v_accvgpr_read_b32 v10, a38                                // 000000005824: D3D8400A 18000126
	v_accvgpr_read_b32 v11, a39                                // 00000000582C: D3D8400B 18000127
	v_accvgpr_read_b32 v12, a44                                // 000000005834: D3D8400C 1800012C
	v_accvgpr_read_b32 v13, a45                                // 00000000583C: D3D8400D 1800012D
	v_accvgpr_read_b32 v14, a46                                // 000000005844: D3D8400E 1800012E
	v_accvgpr_read_b32 v15, a47                                // 00000000584C: D3D8400F 1800012F
	v_cvt_pk_bf16_f32 v16, v8, v9                              // 000000005854: D2680010 00021308
	v_cvt_pk_bf16_f32 v17, v10, v11                            // 00000000585C: D2680011 0002170A
	v_cvt_pk_bf16_f32 v18, v12, v13                            // 000000005864: D2680012 00021B0C
	v_cvt_pk_bf16_f32 v19, v14, v15                            // 00000000586C: D2680013 00021F0E
	s_nop 1                                                    // 000000005874: BF800001
	v_permlane16_swap_b32_e32 v16, v18                         // 000000005878: 7E20B312
	s_nop 1                                                    // 00000000587C: BF800001
	v_permlane16_swap_b32_e32 v17, v19                         // 000000005880: 7E22B313
	s_nop 1                                                    // 000000005884: BF800001
	buffer_store_dwordx4 v[16:19], v187, s[4:7], 0 offen       // 000000005888: E07C1000 800110BB
	v_add_u32_e32 v187, s62, v187                              // 000000005890: 6977763E
	v_add_u32_e32 v187, 0xc0, v183                             // 000000005894: 69776EFF 000000C0
	v_accvgpr_read_b32 v8, a48                                 // 00000000589C: D3D84008 18000130
	v_accvgpr_read_b32 v9, a49                                 // 0000000058A4: D3D84009 18000131
	v_accvgpr_read_b32 v10, a50                                // 0000000058AC: D3D8400A 18000132
	v_accvgpr_read_b32 v11, a51                                // 0000000058B4: D3D8400B 18000133
	v_accvgpr_read_b32 v12, a56                                // 0000000058BC: D3D8400C 18000138
	v_accvgpr_read_b32 v13, a57                                // 0000000058C4: D3D8400D 18000139
	v_accvgpr_read_b32 v14, a58                                // 0000000058CC: D3D8400E 1800013A
	v_accvgpr_read_b32 v15, a59                                // 0000000058D4: D3D8400F 1800013B
	v_cvt_pk_bf16_f32 v16, v8, v9                              // 0000000058DC: D2680010 00021308
	v_cvt_pk_bf16_f32 v17, v10, v11                            // 0000000058E4: D2680011 0002170A
	v_cvt_pk_bf16_f32 v18, v12, v13                            // 0000000058EC: D2680012 00021B0C
	v_cvt_pk_bf16_f32 v19, v14, v15                            // 0000000058F4: D2680013 00021F0E
	s_nop 1                                                    // 0000000058FC: BF800001
	v_permlane16_swap_b32_e32 v16, v18                         // 000000005900: 7E20B312
	s_nop 1                                                    // 000000005904: BF800001
	v_permlane16_swap_b32_e32 v17, v19                         // 000000005908: 7E22B313
	s_nop 1                                                    // 00000000590C: BF800001
	buffer_store_dwordx4 v[16:19], v187, s[4:7], 0 offen       // 000000005910: E07C1000 800110BB
	v_add_u32_e32 v187, s62, v187                              // 000000005918: 6977763E
	v_accvgpr_read_b32 v8, a52                                 // 00000000591C: D3D84008 18000134
	v_accvgpr_read_b32 v9, a53                                 // 000000005924: D3D84009 18000135
	v_accvgpr_read_b32 v10, a54                                // 00000000592C: D3D8400A 18000136
	v_accvgpr_read_b32 v11, a55                                // 000000005934: D3D8400B 18000137
	v_accvgpr_read_b32 v12, a60                                // 00000000593C: D3D8400C 1800013C
	v_accvgpr_read_b32 v13, a61                                // 000000005944: D3D8400D 1800013D
	v_accvgpr_read_b32 v14, a62                                // 00000000594C: D3D8400E 1800013E
	v_accvgpr_read_b32 v15, a63                                // 000000005954: D3D8400F 1800013F
	v_cvt_pk_bf16_f32 v16, v8, v9                              // 00000000595C: D2680010 00021308
	v_cvt_pk_bf16_f32 v17, v10, v11                            // 000000005964: D2680011 0002170A
	v_cvt_pk_bf16_f32 v18, v12, v13                            // 00000000596C: D2680012 00021B0C
	v_cvt_pk_bf16_f32 v19, v14, v15                            // 000000005974: D2680013 00021F0E
	s_nop 1                                                    // 00000000597C: BF800001
	v_permlane16_swap_b32_e32 v16, v18                         // 000000005980: 7E20B312
	s_nop 1                                                    // 000000005984: BF800001
	v_permlane16_swap_b32_e32 v17, v19                         // 000000005988: 7E22B313
	s_nop 1                                                    // 00000000598C: BF800001
	buffer_store_dwordx4 v[16:19], v187, s[4:7], 0 offen       // 000000005990: E07C1000 800110BB
	v_add_u32_e32 v187, s62, v187                              // 000000005998: 6977763E
	v_add_u32_e32 v187, 0x100, v183                            // 00000000599C: 69776EFF 00000100
	v_accvgpr_read_b32 v8, a64                                 // 0000000059A4: D3D84008 18000140
	v_accvgpr_read_b32 v9, a65                                 // 0000000059AC: D3D84009 18000141
	v_accvgpr_read_b32 v10, a66                                // 0000000059B4: D3D8400A 18000142
	v_accvgpr_read_b32 v11, a67                                // 0000000059BC: D3D8400B 18000143
	v_accvgpr_read_b32 v12, a72                                // 0000000059C4: D3D8400C 18000148
	v_accvgpr_read_b32 v13, a73                                // 0000000059CC: D3D8400D 18000149
	v_accvgpr_read_b32 v14, a74                                // 0000000059D4: D3D8400E 1800014A
	v_accvgpr_read_b32 v15, a75                                // 0000000059DC: D3D8400F 1800014B
	v_cvt_pk_bf16_f32 v16, v8, v9                              // 0000000059E4: D2680010 00021308
	v_cvt_pk_bf16_f32 v17, v10, v11                            // 0000000059EC: D2680011 0002170A
	v_cvt_pk_bf16_f32 v18, v12, v13                            // 0000000059F4: D2680012 00021B0C
	v_cvt_pk_bf16_f32 v19, v14, v15                            // 0000000059FC: D2680013 00021F0E
	s_nop 1                                                    // 000000005A04: BF800001
	v_permlane16_swap_b32_e32 v16, v18                         // 000000005A08: 7E20B312
	s_nop 1                                                    // 000000005A0C: BF800001
	v_permlane16_swap_b32_e32 v17, v19                         // 000000005A10: 7E22B313
	s_nop 1                                                    // 000000005A14: BF800001
	buffer_store_dwordx4 v[16:19], v187, s[4:7], 0 offen       // 000000005A18: E07C1000 800110BB
	v_add_u32_e32 v187, s62, v187                              // 000000005A20: 6977763E
	v_accvgpr_read_b32 v8, a68                                 // 000000005A24: D3D84008 18000144
	v_accvgpr_read_b32 v9, a69                                 // 000000005A2C: D3D84009 18000145
	v_accvgpr_read_b32 v10, a70                                // 000000005A34: D3D8400A 18000146
	v_accvgpr_read_b32 v11, a71                                // 000000005A3C: D3D8400B 18000147
	v_accvgpr_read_b32 v12, a76                                // 000000005A44: D3D8400C 1800014C
	v_accvgpr_read_b32 v13, a77                                // 000000005A4C: D3D8400D 1800014D
	v_accvgpr_read_b32 v14, a78                                // 000000005A54: D3D8400E 1800014E
	v_accvgpr_read_b32 v15, a79                                // 000000005A5C: D3D8400F 1800014F
	v_cvt_pk_bf16_f32 v16, v8, v9                              // 000000005A64: D2680010 00021308
	v_cvt_pk_bf16_f32 v17, v10, v11                            // 000000005A6C: D2680011 0002170A
	v_cvt_pk_bf16_f32 v18, v12, v13                            // 000000005A74: D2680012 00021B0C
	v_cvt_pk_bf16_f32 v19, v14, v15                            // 000000005A7C: D2680013 00021F0E
	s_nop 1                                                    // 000000005A84: BF800001
	v_permlane16_swap_b32_e32 v16, v18                         // 000000005A88: 7E20B312
	s_nop 1                                                    // 000000005A8C: BF800001
	v_permlane16_swap_b32_e32 v17, v19                         // 000000005A90: 7E22B313
	s_nop 1                                                    // 000000005A94: BF800001
	buffer_store_dwordx4 v[16:19], v187, s[4:7], 0 offen       // 000000005A98: E07C1000 800110BB
	v_add_u32_e32 v187, s62, v187                              // 000000005AA0: 6977763E
	s_branch label_0D02                                        // 000000005AA4: BF820158

0000000000005aa8 <label_0BAA>:
	s_mul_i32 s62, s36, 16                                     // 000000005AA8: 923E9024
	s_cmp_lt_i32 s60, s44                                      // 000000005AAC: BF042C3C
	s_cbranch_scc0 label_0D02                                  // 000000005AB0: BF840155
	s_addk_i32 s60, 0x20                                       // 000000005AB4: B73C0020
	v_add_u32_e32 v187, 0, v183                                // 000000005AB8: 69776E80
	v_accvgpr_read_b32 v8, a0                                  // 000000005ABC: D3D84008 18000100
	v_accvgpr_read_b32 v9, a1                                  // 000000005AC4: D3D84009 18000101
	v_accvgpr_read_b32 v10, a2                                 // 000000005ACC: D3D8400A 18000102
	v_accvgpr_read_b32 v11, a3                                 // 000000005AD4: D3D8400B 18000103
	v_accvgpr_read_b32 v12, a8                                 // 000000005ADC: D3D8400C 18000108
	v_accvgpr_read_b32 v13, a9                                 // 000000005AE4: D3D8400D 18000109
	v_accvgpr_read_b32 v14, a10                                // 000000005AEC: D3D8400E 1800010A
	v_accvgpr_read_b32 v15, a11                                // 000000005AF4: D3D8400F 1800010B
	v_cvt_pk_bf16_f32 v16, v8, v9                              // 000000005AFC: D2680010 00021308
	v_cvt_pk_bf16_f32 v17, v10, v11                            // 000000005B04: D2680011 0002170A
	v_cvt_pk_bf16_f32 v18, v12, v13                            // 000000005B0C: D2680012 00021B0C
	v_cvt_pk_bf16_f32 v19, v14, v15                            // 000000005B14: D2680013 00021F0E
	s_nop 1                                                    // 000000005B1C: BF800001
	v_permlane16_swap_b32_e32 v16, v18                         // 000000005B20: 7E20B312
	s_nop 1                                                    // 000000005B24: BF800001
	v_permlane16_swap_b32_e32 v17, v19                         // 000000005B28: 7E22B313
	s_nop 1                                                    // 000000005B2C: BF800001
	buffer_store_dwordx4 v[16:19], v187, s[4:7], 0 offen       // 000000005B30: E07C1000 800110BB
	v_add_u32_e32 v187, s62, v187                              // 000000005B38: 6977763E
	v_accvgpr_read_b32 v8, a4                                  // 000000005B3C: D3D84008 18000104
	v_accvgpr_read_b32 v9, a5                                  // 000000005B44: D3D84009 18000105
	v_accvgpr_read_b32 v10, a6                                 // 000000005B4C: D3D8400A 18000106
	v_accvgpr_read_b32 v11, a7                                 // 000000005B54: D3D8400B 18000107
	v_accvgpr_read_b32 v12, a12                                // 000000005B5C: D3D8400C 1800010C
	v_accvgpr_read_b32 v13, a13                                // 000000005B64: D3D8400D 1800010D
	v_accvgpr_read_b32 v14, a14                                // 000000005B6C: D3D8400E 1800010E
	v_accvgpr_read_b32 v15, a15                                // 000000005B74: D3D8400F 1800010F
	v_cvt_pk_bf16_f32 v16, v8, v9                              // 000000005B7C: D2680010 00021308
	v_cvt_pk_bf16_f32 v17, v10, v11                            // 000000005B84: D2680011 0002170A
	v_cvt_pk_bf16_f32 v18, v12, v13                            // 000000005B8C: D2680012 00021B0C
	v_cvt_pk_bf16_f32 v19, v14, v15                            // 000000005B94: D2680013 00021F0E
	s_nop 1                                                    // 000000005B9C: BF800001
	v_permlane16_swap_b32_e32 v16, v18                         // 000000005BA0: 7E20B312
	s_nop 1                                                    // 000000005BA4: BF800001
	v_permlane16_swap_b32_e32 v17, v19                         // 000000005BA8: 7E22B313
	s_nop 1                                                    // 000000005BAC: BF800001
	buffer_store_dwordx4 v[16:19], v187, s[4:7], 0 offen       // 000000005BB0: E07C1000 800110BB
	v_add_u32_e32 v187, s62, v187                              // 000000005BB8: 6977763E
	s_cmp_lt_i32 s60, s44                                      // 000000005BBC: BF042C3C
	s_cbranch_scc0 label_0D02                                  // 000000005BC0: BF840111
	s_addk_i32 s60, 0x20                                       // 000000005BC4: B73C0020
	v_add_u32_e32 v187, 64, v183                               // 000000005BC8: 69776EC0
	v_accvgpr_read_b32 v8, a16                                 // 000000005BCC: D3D84008 18000110
	v_accvgpr_read_b32 v9, a17                                 // 000000005BD4: D3D84009 18000111
	v_accvgpr_read_b32 v10, a18                                // 000000005BDC: D3D8400A 18000112
	v_accvgpr_read_b32 v11, a19                                // 000000005BE4: D3D8400B 18000113
	v_accvgpr_read_b32 v12, a24                                // 000000005BEC: D3D8400C 18000118
	v_accvgpr_read_b32 v13, a25                                // 000000005BF4: D3D8400D 18000119
	v_accvgpr_read_b32 v14, a26                                // 000000005BFC: D3D8400E 1800011A
	v_accvgpr_read_b32 v15, a27                                // 000000005C04: D3D8400F 1800011B
	v_cvt_pk_bf16_f32 v16, v8, v9                              // 000000005C0C: D2680010 00021308
	v_cvt_pk_bf16_f32 v17, v10, v11                            // 000000005C14: D2680011 0002170A
	v_cvt_pk_bf16_f32 v18, v12, v13                            // 000000005C1C: D2680012 00021B0C
	v_cvt_pk_bf16_f32 v19, v14, v15                            // 000000005C24: D2680013 00021F0E
	s_nop 1                                                    // 000000005C2C: BF800001
	v_permlane16_swap_b32_e32 v16, v18                         // 000000005C30: 7E20B312
	s_nop 1                                                    // 000000005C34: BF800001
	v_permlane16_swap_b32_e32 v17, v19                         // 000000005C38: 7E22B313
	s_nop 1                                                    // 000000005C3C: BF800001
	buffer_store_dwordx4 v[16:19], v187, s[4:7], 0 offen       // 000000005C40: E07C1000 800110BB
	v_add_u32_e32 v187, s62, v187                              // 000000005C48: 6977763E
	v_accvgpr_read_b32 v8, a20                                 // 000000005C4C: D3D84008 18000114
	v_accvgpr_read_b32 v9, a21                                 // 000000005C54: D3D84009 18000115
	v_accvgpr_read_b32 v10, a22                                // 000000005C5C: D3D8400A 18000116
	v_accvgpr_read_b32 v11, a23                                // 000000005C64: D3D8400B 18000117
	v_accvgpr_read_b32 v12, a28                                // 000000005C6C: D3D8400C 1800011C
	v_accvgpr_read_b32 v13, a29                                // 000000005C74: D3D8400D 1800011D
	v_accvgpr_read_b32 v14, a30                                // 000000005C7C: D3D8400E 1800011E
	v_accvgpr_read_b32 v15, a31                                // 000000005C84: D3D8400F 1800011F
	v_cvt_pk_bf16_f32 v16, v8, v9                              // 000000005C8C: D2680010 00021308
	v_cvt_pk_bf16_f32 v17, v10, v11                            // 000000005C94: D2680011 0002170A
	v_cvt_pk_bf16_f32 v18, v12, v13                            // 000000005C9C: D2680012 00021B0C
	v_cvt_pk_bf16_f32 v19, v14, v15                            // 000000005CA4: D2680013 00021F0E
	s_nop 1                                                    // 000000005CAC: BF800001
	v_permlane16_swap_b32_e32 v16, v18                         // 000000005CB0: 7E20B312
	s_nop 1                                                    // 000000005CB4: BF800001
	v_permlane16_swap_b32_e32 v17, v19                         // 000000005CB8: 7E22B313
	s_nop 1                                                    // 000000005CBC: BF800001
	buffer_store_dwordx4 v[16:19], v187, s[4:7], 0 offen       // 000000005CC0: E07C1000 800110BB
	v_add_u32_e32 v187, s62, v187                              // 000000005CC8: 6977763E
	s_cmp_lt_i32 s60, s44                                      // 000000005CCC: BF042C3C
	s_cbranch_scc0 label_0D02                                  // 000000005CD0: BF8400CD
	s_addk_i32 s60, 0x20                                       // 000000005CD4: B73C0020
	v_add_u32_e32 v187, 0x80, v183                             // 000000005CD8: 69776EFF 00000080
	v_accvgpr_read_b32 v8, a32                                 // 000000005CE0: D3D84008 18000120
	v_accvgpr_read_b32 v9, a33                                 // 000000005CE8: D3D84009 18000121
	v_accvgpr_read_b32 v10, a34                                // 000000005CF0: D3D8400A 18000122
	v_accvgpr_read_b32 v11, a35                                // 000000005CF8: D3D8400B 18000123
	v_accvgpr_read_b32 v12, a40                                // 000000005D00: D3D8400C 18000128
	v_accvgpr_read_b32 v13, a41                                // 000000005D08: D3D8400D 18000129
	v_accvgpr_read_b32 v14, a42                                // 000000005D10: D3D8400E 1800012A
	v_accvgpr_read_b32 v15, a43                                // 000000005D18: D3D8400F 1800012B
	v_cvt_pk_bf16_f32 v16, v8, v9                              // 000000005D20: D2680010 00021308
	v_cvt_pk_bf16_f32 v17, v10, v11                            // 000000005D28: D2680011 0002170A
	v_cvt_pk_bf16_f32 v18, v12, v13                            // 000000005D30: D2680012 00021B0C
	v_cvt_pk_bf16_f32 v19, v14, v15                            // 000000005D38: D2680013 00021F0E
	s_nop 1                                                    // 000000005D40: BF800001
	v_permlane16_swap_b32_e32 v16, v18                         // 000000005D44: 7E20B312
	s_nop 1                                                    // 000000005D48: BF800001
	v_permlane16_swap_b32_e32 v17, v19                         // 000000005D4C: 7E22B313
	s_nop 1                                                    // 000000005D50: BF800001
	buffer_store_dwordx4 v[16:19], v187, s[4:7], 0 offen       // 000000005D54: E07C1000 800110BB
	v_add_u32_e32 v187, s62, v187                              // 000000005D5C: 6977763E
	v_accvgpr_read_b32 v8, a36                                 // 000000005D60: D3D84008 18000124
	v_accvgpr_read_b32 v9, a37                                 // 000000005D68: D3D84009 18000125
	v_accvgpr_read_b32 v10, a38                                // 000000005D70: D3D8400A 18000126
	v_accvgpr_read_b32 v11, a39                                // 000000005D78: D3D8400B 18000127
	v_accvgpr_read_b32 v12, a44                                // 000000005D80: D3D8400C 1800012C
	v_accvgpr_read_b32 v13, a45                                // 000000005D88: D3D8400D 1800012D
	v_accvgpr_read_b32 v14, a46                                // 000000005D90: D3D8400E 1800012E
	v_accvgpr_read_b32 v15, a47                                // 000000005D98: D3D8400F 1800012F
	v_cvt_pk_bf16_f32 v16, v8, v9                              // 000000005DA0: D2680010 00021308
	v_cvt_pk_bf16_f32 v17, v10, v11                            // 000000005DA8: D2680011 0002170A
	v_cvt_pk_bf16_f32 v18, v12, v13                            // 000000005DB0: D2680012 00021B0C
	v_cvt_pk_bf16_f32 v19, v14, v15                            // 000000005DB8: D2680013 00021F0E
	s_nop 1                                                    // 000000005DC0: BF800001
	v_permlane16_swap_b32_e32 v16, v18                         // 000000005DC4: 7E20B312
	s_nop 1                                                    // 000000005DC8: BF800001
	v_permlane16_swap_b32_e32 v17, v19                         // 000000005DCC: 7E22B313
	s_nop 1                                                    // 000000005DD0: BF800001
	buffer_store_dwordx4 v[16:19], v187, s[4:7], 0 offen       // 000000005DD4: E07C1000 800110BB
	v_add_u32_e32 v187, s62, v187                              // 000000005DDC: 6977763E
	s_cmp_lt_i32 s60, s44                                      // 000000005DE0: BF042C3C
	s_cbranch_scc0 label_0D02                                  // 000000005DE4: BF840088
	s_addk_i32 s60, 0x20                                       // 000000005DE8: B73C0020
	v_add_u32_e32 v187, 0xc0, v183                             // 000000005DEC: 69776EFF 000000C0
	v_accvgpr_read_b32 v8, a48                                 // 000000005DF4: D3D84008 18000130
	v_accvgpr_read_b32 v9, a49                                 // 000000005DFC: D3D84009 18000131
	v_accvgpr_read_b32 v10, a50                                // 000000005E04: D3D8400A 18000132
	v_accvgpr_read_b32 v11, a51                                // 000000005E0C: D3D8400B 18000133
	v_accvgpr_read_b32 v12, a56                                // 000000005E14: D3D8400C 18000138
	v_accvgpr_read_b32 v13, a57                                // 000000005E1C: D3D8400D 18000139
	v_accvgpr_read_b32 v14, a58                                // 000000005E24: D3D8400E 1800013A
	v_accvgpr_read_b32 v15, a59                                // 000000005E2C: D3D8400F 1800013B
	v_cvt_pk_bf16_f32 v16, v8, v9                              // 000000005E34: D2680010 00021308
	v_cvt_pk_bf16_f32 v17, v10, v11                            // 000000005E3C: D2680011 0002170A
	v_cvt_pk_bf16_f32 v18, v12, v13                            // 000000005E44: D2680012 00021B0C
	v_cvt_pk_bf16_f32 v19, v14, v15                            // 000000005E4C: D2680013 00021F0E
	s_nop 1                                                    // 000000005E54: BF800001
	v_permlane16_swap_b32_e32 v16, v18                         // 000000005E58: 7E20B312
	s_nop 1                                                    // 000000005E5C: BF800001
	v_permlane16_swap_b32_e32 v17, v19                         // 000000005E60: 7E22B313
	s_nop 1                                                    // 000000005E64: BF800001
	buffer_store_dwordx4 v[16:19], v187, s[4:7], 0 offen       // 000000005E68: E07C1000 800110BB
	v_add_u32_e32 v187, s62, v187                              // 000000005E70: 6977763E
	v_accvgpr_read_b32 v8, a52                                 // 000000005E74: D3D84008 18000134
	v_accvgpr_read_b32 v9, a53                                 // 000000005E7C: D3D84009 18000135
	v_accvgpr_read_b32 v10, a54                                // 000000005E84: D3D8400A 18000136
	v_accvgpr_read_b32 v11, a55                                // 000000005E8C: D3D8400B 18000137
	v_accvgpr_read_b32 v12, a60                                // 000000005E94: D3D8400C 1800013C
	v_accvgpr_read_b32 v13, a61                                // 000000005E9C: D3D8400D 1800013D
	v_accvgpr_read_b32 v14, a62                                // 000000005EA4: D3D8400E 1800013E
	v_accvgpr_read_b32 v15, a63                                // 000000005EAC: D3D8400F 1800013F
	v_cvt_pk_bf16_f32 v16, v8, v9                              // 000000005EB4: D2680010 00021308
	v_cvt_pk_bf16_f32 v17, v10, v11                            // 000000005EBC: D2680011 0002170A
	v_cvt_pk_bf16_f32 v18, v12, v13                            // 000000005EC4: D2680012 00021B0C
	v_cvt_pk_bf16_f32 v19, v14, v15                            // 000000005ECC: D2680013 00021F0E
	s_nop 1                                                    // 000000005ED4: BF800001
	v_permlane16_swap_b32_e32 v16, v18                         // 000000005ED8: 7E20B312
	s_nop 1                                                    // 000000005EDC: BF800001
	v_permlane16_swap_b32_e32 v17, v19                         // 000000005EE0: 7E22B313
	s_nop 1                                                    // 000000005EE4: BF800001
	buffer_store_dwordx4 v[16:19], v187, s[4:7], 0 offen       // 000000005EE8: E07C1000 800110BB
	v_add_u32_e32 v187, s62, v187                              // 000000005EF0: 6977763E
	s_cmp_lt_i32 s60, s44                                      // 000000005EF4: BF042C3C
	s_cbranch_scc0 label_0D02                                  // 000000005EF8: BF840043
	s_addk_i32 s60, 0x20                                       // 000000005EFC: B73C0020
	v_add_u32_e32 v187, 0x100, v183                            // 000000005F00: 69776EFF 00000100
	v_accvgpr_read_b32 v8, a64                                 // 000000005F08: D3D84008 18000140
	v_accvgpr_read_b32 v9, a65                                 // 000000005F10: D3D84009 18000141
	v_accvgpr_read_b32 v10, a66                                // 000000005F18: D3D8400A 18000142
	v_accvgpr_read_b32 v11, a67                                // 000000005F20: D3D8400B 18000143
	v_accvgpr_read_b32 v12, a72                                // 000000005F28: D3D8400C 18000148
	v_accvgpr_read_b32 v13, a73                                // 000000005F30: D3D8400D 18000149
	v_accvgpr_read_b32 v14, a74                                // 000000005F38: D3D8400E 1800014A
	v_accvgpr_read_b32 v15, a75                                // 000000005F40: D3D8400F 1800014B
	v_cvt_pk_bf16_f32 v16, v8, v9                              // 000000005F48: D2680010 00021308
	v_cvt_pk_bf16_f32 v17, v10, v11                            // 000000005F50: D2680011 0002170A
	v_cvt_pk_bf16_f32 v18, v12, v13                            // 000000005F58: D2680012 00021B0C
	v_cvt_pk_bf16_f32 v19, v14, v15                            // 000000005F60: D2680013 00021F0E
	s_nop 1                                                    // 000000005F68: BF800001
	v_permlane16_swap_b32_e32 v16, v18                         // 000000005F6C: 7E20B312
	s_nop 1                                                    // 000000005F70: BF800001
	v_permlane16_swap_b32_e32 v17, v19                         // 000000005F74: 7E22B313
	s_nop 1                                                    // 000000005F78: BF800001
	buffer_store_dwordx4 v[16:19], v187, s[4:7], 0 offen       // 000000005F7C: E07C1000 800110BB
	v_add_u32_e32 v187, s62, v187                              // 000000005F84: 6977763E
	v_accvgpr_read_b32 v8, a68                                 // 000000005F88: D3D84008 18000144
	v_accvgpr_read_b32 v9, a69                                 // 000000005F90: D3D84009 18000145
	v_accvgpr_read_b32 v10, a70                                // 000000005F98: D3D8400A 18000146
	v_accvgpr_read_b32 v11, a71                                // 000000005FA0: D3D8400B 18000147
	v_accvgpr_read_b32 v12, a76                                // 000000005FA8: D3D8400C 1800014C
	v_accvgpr_read_b32 v13, a77                                // 000000005FB0: D3D8400D 1800014D
	v_accvgpr_read_b32 v14, a78                                // 000000005FB8: D3D8400E 1800014E
	v_accvgpr_read_b32 v15, a79                                // 000000005FC0: D3D8400F 1800014F
	v_cvt_pk_bf16_f32 v16, v8, v9                              // 000000005FC8: D2680010 00021308
	v_cvt_pk_bf16_f32 v17, v10, v11                            // 000000005FD0: D2680011 0002170A
	v_cvt_pk_bf16_f32 v18, v12, v13                            // 000000005FD8: D2680012 00021B0C
	v_cvt_pk_bf16_f32 v19, v14, v15                            // 000000005FE0: D2680013 00021F0E
	s_nop 1                                                    // 000000005FE8: BF800001
	v_permlane16_swap_b32_e32 v16, v18                         // 000000005FEC: 7E20B312
	s_nop 1                                                    // 000000005FF0: BF800001
	v_permlane16_swap_b32_e32 v17, v19                         // 000000005FF4: 7E22B313
	s_nop 1                                                    // 000000005FF8: BF800001
	buffer_store_dwordx4 v[16:19], v187, s[4:7], 0 offen       // 000000005FFC: E07C1000 800110BB
	v_add_u32_e32 v187, s62, v187                              // 000000006004: 6977763E

0000000000006008 <label_0D02>:
	s_waitcnt vmcnt(0) expcnt(0) lgkmcnt(0)                    // 000000006008: BF8C0000
	s_endpgm                                                   // 00000000600C: BF810000
